;; amdgpu-corpus repo=ROCm/rocFFT kind=compiled arch=gfx1030 opt=O3
	.text
	.amdgcn_target "amdgcn-amd-amdhsa--gfx1030"
	.amdhsa_code_object_version 6
	.protected	bluestein_single_fwd_len1547_dim1_dp_op_CI_CI ; -- Begin function bluestein_single_fwd_len1547_dim1_dp_op_CI_CI
	.globl	bluestein_single_fwd_len1547_dim1_dp_op_CI_CI
	.p2align	8
	.type	bluestein_single_fwd_len1547_dim1_dp_op_CI_CI,@function
bluestein_single_fwd_len1547_dim1_dp_op_CI_CI: ; @bluestein_single_fwd_len1547_dim1_dp_op_CI_CI
; %bb.0:
	v_mul_u32_u24_e32 v1, 0x227, v0
	s_mov_b64 s[62:63], s[2:3]
	s_mov_b64 s[60:61], s[0:1]
	s_load_dwordx4 s[0:3], s[4:5], 0x28
	s_add_u32 s60, s60, s7
	v_lshrrev_b32_e32 v1, 16, v1
	s_addc_u32 s61, s61, 0
	v_mov_b32_e32 v4, 0
	v_add_nc_u32_e32 v3, s6, v1
	v_mov_b32_e32 v2, v3
	buffer_store_dword v2, off, s[60:63], 0 ; 4-byte Folded Spill
	buffer_store_dword v3, off, s[60:63], 0 offset:4 ; 4-byte Folded Spill
	s_waitcnt lgkmcnt(0)
	v_cmp_gt_u64_e32 vcc_lo, s[0:1], v[3:4]
	s_and_saveexec_b32 s0, vcc_lo
	s_cbranch_execz .LBB0_23
; %bb.1:
	s_clause 0x1
	s_load_dwordx2 s[12:13], s[4:5], 0x0
	s_load_dwordx2 s[14:15], s[4:5], 0x38
	v_mul_lo_u16 v1, 0x77, v1
	v_sub_nc_u16 v0, v0, v1
	v_and_b32_e32 v1, 0xffff, v0
	v_cmp_gt_u16_e32 vcc_lo, 0x5b, v0
	v_lshlrev_b32_e32 v255, 4, v1
	buffer_store_dword v1, off, s[60:63], 0 offset:8 ; 4-byte Folded Spill
	s_and_saveexec_b32 s1, vcc_lo
	s_cbranch_execz .LBB0_3
; %bb.2:
	s_load_dwordx2 s[6:7], s[4:5], 0x18
	s_waitcnt lgkmcnt(0)
	s_clause 0x1
	global_load_dwordx4 v[0:3], v255, s[12:13]
	global_load_dwordx4 v[4:7], v255, s[12:13] offset:1456
	v_add_co_u32 v8, s0, s12, v255
	v_add_co_ci_u32_e64 v9, null, s13, 0, s0
	v_add_co_u32 v10, s0, 0x800, v8
	v_add_co_ci_u32_e64 v11, s0, 0, v9, s0
	v_add_co_u32 v18, s0, 0x1000, v8
	v_add_co_ci_u32_e64 v19, s0, 0, v9, s0
	;; [unrolled: 2-line block ×3, first 2 shown]
	v_add_co_u32 v30, s0, 0x2000, v8
	s_load_dwordx4 s[8:11], s[6:7], 0x0
	s_clause 0x2
	buffer_load_dword v12, off, s[60:63], 0
	buffer_load_dword v13, off, s[60:63], 0 offset:4
	buffer_load_dword v15, off, s[60:63], 0 offset:8
	v_add_co_ci_u32_e64 v31, s0, 0, v9, s0
	v_add_co_u32 v34, s0, 0x2800, v8
	v_add_co_ci_u32_e64 v35, s0, 0, v9, s0
	v_add_co_u32 v38, s0, 0x3000, v8
	;; [unrolled: 2-line block ×5, first 2 shown]
	v_add_co_ci_u32_e64 v119, s0, 0, v9, s0
	s_waitcnt lgkmcnt(0)
	s_mul_i32 s6, s9, 0x5b0
	s_mul_hi_u32 s7, s8, 0x5b0
	s_add_i32 s7, s7, s6
	s_waitcnt vmcnt(2)
	v_mov_b32_e32 v14, v12
	s_waitcnt vmcnt(0)
	v_mad_u64_u32 v[40:41], null, s8, v15, 0
	v_mad_u64_u32 v[36:37], null, s10, v14, 0
	v_mov_b32_e32 v13, v41
	v_mov_b32_e32 v12, v37
	v_mad_u64_u32 v[41:42], null, s9, v15, v[13:14]
	v_mad_u64_u32 v[24:25], null, s11, v14, v[12:13]
	s_clause 0x2
	global_load_dwordx4 v[10:13], v[10:11], off offset:864
	global_load_dwordx4 v[14:17], v[18:19], off offset:272
	;; [unrolled: 1-line block ×3, first 2 shown]
	v_lshlrev_b64 v[40:41], 4, v[40:41]
	v_mov_b32_e32 v37, v24
	s_clause 0x2
	global_load_dwordx4 v[22:25], v[22:23], off offset:1136
	global_load_dwordx4 v[26:29], v[30:31], off offset:544
	;; [unrolled: 1-line block ×3, first 2 shown]
	v_lshlrev_b64 v[42:43], 4, v[36:37]
	global_load_dwordx4 v[34:37], v[34:35], off offset:1408
	v_add_co_u32 v42, s0, s2, v42
	v_add_co_ci_u32_e64 v43, s0, s3, v43, s0
	s_mul_i32 s2, s8, 0x5b0
	v_add_co_u32 v58, s0, v42, v40
	v_add_co_ci_u32_e64 v59, s0, v43, v41, s0
	global_load_dwordx4 v[38:41], v[38:39], off offset:816
	v_add_co_u32 v62, s0, v58, s2
	v_add_co_ci_u32_e64 v63, s0, s7, v59, s0
	s_clause 0x1
	global_load_dwordx4 v[42:45], v[46:47], off offset:224
	global_load_dwordx4 v[46:49], v[46:47], off offset:1680
	v_add_co_u32 v66, s0, v62, s2
	v_add_co_ci_u32_e64 v67, s0, s7, v63, s0
	s_clause 0x1
	global_load_dwordx4 v[50:53], v[50:51], off offset:1088
	global_load_dwordx4 v[54:57], v[118:119], off offset:496
	v_add_co_u32 v70, s0, v66, s2
	v_add_co_ci_u32_e64 v71, s0, s7, v67, s0
	s_clause 0x1
	global_load_dwordx4 v[58:61], v[58:59], off
	global_load_dwordx4 v[62:65], v[62:63], off
	v_add_co_u32 v74, s0, v70, s2
	v_add_co_ci_u32_e64 v75, s0, s7, v71, s0
	s_clause 0x1
	global_load_dwordx4 v[66:69], v[66:67], off
	global_load_dwordx4 v[70:73], v[70:71], off
	v_add_co_u32 v78, s0, v74, s2
	v_add_co_ci_u32_e64 v79, s0, s7, v75, s0
	global_load_dwordx4 v[74:77], v[74:75], off
	v_add_co_u32 v82, s0, v78, s2
	v_add_co_ci_u32_e64 v83, s0, s7, v79, s0
	;; [unrolled: 3-line block ×7, first 2 shown]
	v_add_co_u32 v106, s0, v102, s2
	v_add_co_ci_u32_e64 v107, s0, s7, v103, s0
	v_add_co_u32 v110, s0, v106, s2
	v_add_co_ci_u32_e64 v111, s0, s7, v107, s0
	;; [unrolled: 2-line block ×3, first 2 shown]
	global_load_dwordx4 v[98:101], v[98:99], off
	global_load_dwordx4 v[102:105], v[102:103], off
	;; [unrolled: 1-line block ×5, first 2 shown]
	v_add_co_u32 v122, s0, v120, s2
	v_add_co_ci_u32_e64 v123, s0, s7, v121, s0
	v_add_co_u32 v126, s0, 0x5000, v8
	v_add_co_ci_u32_e64 v127, s0, 0, v9, s0
	;; [unrolled: 2-line block ×4, first 2 shown]
	global_load_dwordx4 v[118:121], v[118:119], off offset:1952
	global_load_dwordx4 v[122:125], v[122:123], off
	s_clause 0x1
	global_load_dwordx4 v[126:129], v[126:127], off offset:1360
	global_load_dwordx4 v[130:133], v[8:9], off offset:768
	global_load_dwordx4 v[134:137], v[134:135], off
	s_waitcnt vmcnt(19)
	v_mul_f64 v[8:9], v[60:61], v[2:3]
	v_mul_f64 v[2:3], v[58:59], v[2:3]
	s_waitcnt vmcnt(18)
	v_mul_f64 v[138:139], v[64:65], v[6:7]
	v_mul_f64 v[140:141], v[62:63], v[6:7]
	;; [unrolled: 3-line block ×6, first 2 shown]
	v_fma_f64 v[6:7], v[58:59], v[0:1], v[8:9]
	v_fma_f64 v[8:9], v[60:61], v[0:1], -v[2:3]
	v_fma_f64 v[0:1], v[62:63], v[4:5], v[138:139]
	v_fma_f64 v[2:3], v[64:65], v[4:5], -v[140:141]
	s_waitcnt vmcnt(13)
	v_mul_f64 v[4:5], v[84:85], v[28:29]
	v_mul_f64 v[28:29], v[82:83], v[28:29]
	s_waitcnt vmcnt(12)
	v_mul_f64 v[62:63], v[88:89], v[32:33]
	v_mul_f64 v[32:33], v[86:87], v[32:33]
	v_fma_f64 v[58:59], v[66:67], v[10:11], v[142:143]
	v_fma_f64 v[60:61], v[68:69], v[10:11], -v[12:13]
	s_waitcnt vmcnt(11)
	v_mul_f64 v[64:65], v[92:93], v[36:37]
	v_mul_f64 v[36:37], v[90:91], v[36:37]
	v_fma_f64 v[10:11], v[70:71], v[14:15], v[144:145]
	v_fma_f64 v[12:13], v[72:73], v[14:15], -v[16:17]
	v_fma_f64 v[14:15], v[74:75], v[18:19], v[146:147]
	s_waitcnt vmcnt(10)
	v_mul_f64 v[66:67], v[96:97], v[40:41]
	v_mul_f64 v[40:41], v[94:95], v[40:41]
	v_fma_f64 v[16:17], v[76:77], v[18:19], -v[20:21]
	v_fma_f64 v[18:19], v[78:79], v[22:23], v[148:149]
	v_fma_f64 v[20:21], v[80:81], v[22:23], -v[24:25]
	v_fma_f64 v[22:23], v[82:83], v[26:27], v[4:5]
	;; [unrolled: 2-line block ×3, first 2 shown]
	v_fma_f64 v[28:29], v[88:89], v[30:31], -v[32:33]
	s_waitcnt vmcnt(9)
	v_mul_f64 v[68:69], v[100:101], v[44:45]
	v_mul_f64 v[44:45], v[98:99], v[44:45]
	s_waitcnt vmcnt(8)
	v_mul_f64 v[70:71], v[104:105], v[48:49]
	v_mul_f64 v[48:49], v[102:103], v[48:49]
	;; [unrolled: 3-line block ×4, first 2 shown]
	v_fma_f64 v[30:31], v[90:91], v[34:35], v[64:65]
	v_fma_f64 v[32:33], v[92:93], v[34:35], -v[36:37]
	v_fma_f64 v[34:35], v[94:95], v[38:39], v[66:67]
	v_fma_f64 v[36:37], v[96:97], v[38:39], -v[40:41]
	s_waitcnt vmcnt(4)
	v_mul_f64 v[76:77], v[116:117], v[120:121]
	v_mul_f64 v[78:79], v[114:115], v[120:121]
	s_waitcnt vmcnt(2)
	v_mul_f64 v[80:81], v[124:125], v[128:129]
	v_mul_f64 v[120:121], v[122:123], v[128:129]
	;; [unrolled: 3-line block ×3, first 2 shown]
	v_fma_f64 v[38:39], v[98:99], v[42:43], v[68:69]
	v_fma_f64 v[40:41], v[100:101], v[42:43], -v[44:45]
	v_fma_f64 v[42:43], v[102:103], v[46:47], v[70:71]
	v_fma_f64 v[44:45], v[104:105], v[46:47], -v[48:49]
	;; [unrolled: 2-line block ×7, first 2 shown]
	ds_write_b128 v255, v[6:9]
	ds_write_b128 v255, v[0:3] offset:1456
	ds_write_b128 v255, v[58:61] offset:2912
	;; [unrolled: 1-line block ×16, first 2 shown]
.LBB0_3:
	s_or_b32 exec_lo, exec_lo, s1
	s_waitcnt lgkmcnt(0)
	s_waitcnt_vscnt null, 0x0
	s_barrier
	buffer_gl0_inv
                                        ; implicit-def: $vgpr20_vgpr21
                                        ; implicit-def: $vgpr40_vgpr41
                                        ; implicit-def: $vgpr44_vgpr45
                                        ; implicit-def: $vgpr48_vgpr49
                                        ; implicit-def: $vgpr52_vgpr53
                                        ; implicit-def: $vgpr60_vgpr61
                                        ; implicit-def: $vgpr64_vgpr65
                                        ; implicit-def: $vgpr68_vgpr69
                                        ; implicit-def: $vgpr80_vgpr81
                                        ; implicit-def: $vgpr84_vgpr85
                                        ; implicit-def: $vgpr88_vgpr89
                                        ; implicit-def: $vgpr72_vgpr73
                                        ; implicit-def: $vgpr32_vgpr33
                                        ; implicit-def: $vgpr28_vgpr29
                                        ; implicit-def: $vgpr24_vgpr25
                                        ; implicit-def: $vgpr16_vgpr17
                                        ; implicit-def: $vgpr12_vgpr13
	s_and_saveexec_b32 s0, vcc_lo
	s_cbranch_execz .LBB0_5
; %bb.4:
	ds_read_b128 v[20:23], v255
	ds_read_b128 v[40:43], v255 offset:1456
	ds_read_b128 v[44:47], v255 offset:2912
	;; [unrolled: 1-line block ×16, first 2 shown]
.LBB0_5:
	s_or_b32 exec_lo, exec_lo, s0
	s_waitcnt lgkmcnt(0)
	v_add_f64 v[116:117], v[42:43], -v[14:15]
	v_add_f64 v[118:119], v[40:41], -v[12:13]
	s_mov_b32 s2, 0x5d8e7cdc
	s_mov_b32 s3, 0xbfd71e95
	v_add_f64 v[122:123], v[46:47], -v[18:19]
	v_add_f64 v[120:121], v[44:45], -v[16:17]
	s_mov_b32 s6, 0x2a9d6da3
	s_mov_b32 s7, 0xbfe58eea
	v_add_f64 v[218:219], v[50:51], -v[26:27]
	v_add_f64 v[220:221], v[48:49], -v[24:25]
	s_mov_b32 s34, 0x7c9e640b
	s_mov_b32 s35, 0xbfeca52d
	v_add_f64 v[128:129], v[40:41], v[12:13]
	v_add_f64 v[132:133], v[42:43], v[14:15]
	s_mov_b32 s0, 0x370991
	s_mov_b32 s1, 0x3fedd6d0
	v_add_f64 v[92:93], v[44:45], v[16:17]
	v_add_f64 v[94:95], v[46:47], v[18:19]
	s_mov_b32 s8, 0x75d4884
	s_mov_b32 s9, 0x3fe7a5f6
	v_add_f64 v[104:105], v[50:51], v[26:27]
	s_mov_b32 s10, 0x2b2883cd
	v_mul_f64 v[0:1], v[116:117], s[2:3]
	v_mul_f64 v[2:3], v[118:119], s[2:3]
	s_mov_b32 s11, 0x3fdc86fa
	v_add_f64 v[222:223], v[54:55], -v[30:31]
	v_mul_f64 v[4:5], v[122:123], s[6:7]
	v_mul_f64 v[6:7], v[120:121], s[6:7]
	v_add_f64 v[224:225], v[52:53], -v[28:29]
	s_mov_b32 s28, 0xeb564b22
	v_mul_f64 v[8:9], v[218:219], s[34:35]
	v_mul_f64 v[10:11], v[220:221], s[34:35]
	s_mov_b32 s29, 0xbfefdd0d
	v_add_f64 v[140:141], v[54:55], v[30:31]
	s_mov_b32 s16, 0x3259b75e
	s_mov_b32 s17, 0x3fb79ee6
	v_add_f64 v[226:227], v[62:63], -v[34:35]
	s_mov_b32 s26, 0x923c349f
	s_mov_b32 s27, 0xbfeec746
	v_add_f64 v[98:99], v[48:49], v[24:25]
	v_add_f64 v[126:127], v[52:53], v[28:29]
	;; [unrolled: 1-line block ×3, first 2 shown]
	s_mov_b32 s18, 0xc61f0d01
	s_mov_b32 s19, 0xbfd183b1
	buffer_store_dword v0, off, s[60:63], 0 offset:124 ; 4-byte Folded Spill
	buffer_store_dword v1, off, s[60:63], 0 offset:128 ; 4-byte Folded Spill
	;; [unrolled: 1-line block ×12, first 2 shown]
	v_mul_f64 v[36:37], v[222:223], s[28:29]
	buffer_store_dword v36, off, s[60:63], 0 offset:108 ; 4-byte Folded Spill
	buffer_store_dword v37, off, s[60:63], 0 offset:112 ; 4-byte Folded Spill
	v_add_f64 v[228:229], v[60:61], -v[32:33]
	v_add_f64 v[162:163], v[62:63], v[34:35]
	v_add_f64 v[230:231], v[66:67], -v[74:75]
	s_mov_b32 s30, 0x6c9a05f6
	s_mov_b32 s31, 0xbfe9895b
	v_add_f64 v[154:155], v[64:65], v[72:73]
	s_mov_b32 s24, 0x6ed5f1bb
	s_mov_b32 s25, 0xbfe348c8
	v_add_f64 v[232:233], v[64:65], -v[72:73]
	v_add_f64 v[166:167], v[66:67], v[74:75]
	v_add_f64 v[234:235], v[70:71], -v[90:91]
	s_mov_b32 s36, 0x4363dd80
	s_mov_b32 s37, 0xbfe0d888
	v_add_f64 v[158:159], v[68:69], v[88:89]
	s_mov_b32 s22, 0x910ea3b9
	s_mov_b32 s23, 0xbfeb34fa
	;; [unrolled: 8-line block ×3, first 2 shown]
	v_add_f64 v[240:241], v[80:81], -v[84:85]
	v_add_f64 v[150:151], v[82:83], v[86:87]
	s_mov_b32 s49, 0x3fe0d888
	s_mov_b32 s48, s36
	;; [unrolled: 1-line block ×10, first 2 shown]
	v_mul_f64 v[168:169], v[116:117], s[28:29]
	v_mul_f64 v[176:177], v[118:119], s[28:29]
	s_mov_b32 s51, 0x3fe9895b
	s_mov_b32 s50, s30
	v_mul_f64 v[190:191], v[116:117], s[26:27]
	v_mul_f64 v[196:197], v[118:119], s[26:27]
	;; [unrolled: 1-line block ×24, first 2 shown]
	v_fma_f64 v[76:77], v[94:95], s[22:23], -v[142:143]
	v_mul_f64 v[212:213], v[240:241], s[40:41]
	v_mul_f64 v[112:113], v[116:117], s[36:37]
	;; [unrolled: 1-line block ×6, first 2 shown]
	v_fma_f64 v[246:247], v[94:95], s[10:11], v[244:245]
	v_fma_f64 v[0:1], v[128:129], s[0:1], v[0:1]
	v_fma_f64 v[2:3], v[132:133], s[0:1], -v[2:3]
	v_fma_f64 v[4:5], v[92:93], s[8:9], v[4:5]
	v_fma_f64 v[6:7], v[94:95], s[8:9], -v[6:7]
	v_fma_f64 v[8:9], v[98:99], s[10:11], v[8:9]
	v_add_f64 v[0:1], v[20:21], v[0:1]
	v_add_f64 v[2:3], v[22:23], v[2:3]
	;; [unrolled: 1-line block ×3, first 2 shown]
	v_fma_f64 v[4:5], v[104:105], s[10:11], -v[10:11]
	v_add_f64 v[2:3], v[6:7], v[2:3]
	v_fma_f64 v[6:7], v[126:127], s[16:17], v[36:37]
	v_add_f64 v[0:1], v[8:9], v[0:1]
	v_add_f64 v[2:3], v[4:5], v[2:3]
	v_mul_f64 v[4:5], v[224:225], s[28:29]
	buffer_store_dword v4, off, s[60:63], 0 offset:172 ; 4-byte Folded Spill
	buffer_store_dword v5, off, s[60:63], 0 offset:176 ; 4-byte Folded Spill
	v_add_f64 v[0:1], v[6:7], v[0:1]
	v_fma_f64 v[4:5], v[140:141], s[16:17], -v[4:5]
	v_add_f64 v[2:3], v[4:5], v[2:3]
	v_mul_f64 v[4:5], v[226:227], s[26:27]
	buffer_store_dword v4, off, s[60:63], 0 offset:156 ; 4-byte Folded Spill
	buffer_store_dword v5, off, s[60:63], 0 offset:160 ; 4-byte Folded Spill
	v_fma_f64 v[4:5], v[138:139], s[18:19], v[4:5]
	v_add_f64 v[0:1], v[4:5], v[0:1]
	v_mul_f64 v[4:5], v[228:229], s[26:27]
	buffer_store_dword v4, off, s[60:63], 0 offset:256 ; 4-byte Folded Spill
	buffer_store_dword v5, off, s[60:63], 0 offset:260 ; 4-byte Folded Spill
	v_fma_f64 v[4:5], v[162:163], s[18:19], -v[4:5]
	v_add_f64 v[2:3], v[4:5], v[2:3]
	v_mul_f64 v[4:5], v[230:231], s[30:31]
	buffer_store_dword v4, off, s[60:63], 0 offset:220 ; 4-byte Folded Spill
	buffer_store_dword v5, off, s[60:63], 0 offset:224 ; 4-byte Folded Spill
	v_fma_f64 v[4:5], v[154:155], s[24:25], v[4:5]
	v_add_f64 v[0:1], v[4:5], v[0:1]
	v_mul_f64 v[4:5], v[232:233], s[30:31]
	buffer_store_dword v4, off, s[60:63], 0 offset:272 ; 4-byte Folded Spill
	buffer_store_dword v5, off, s[60:63], 0 offset:276 ; 4-byte Folded Spill
	;; [unrolled: 10-line block ×4, first 2 shown]
	v_fma_f64 v[4:5], v[150:151], s[20:21], -v[4:5]
	v_add_f64 v[2:3], v[4:5], v[2:3]
	buffer_store_dword v0, off, s[60:63], 0 offset:12 ; 4-byte Folded Spill
	buffer_store_dword v1, off, s[60:63], 0 offset:16 ; 4-byte Folded Spill
	;; [unrolled: 1-line block ×4, first 2 shown]
	v_mul_f64 v[0:1], v[116:117], s[6:7]
	buffer_store_dword v0, off, s[60:63], 0 offset:576 ; 4-byte Folded Spill
	buffer_store_dword v1, off, s[60:63], 0 offset:580 ; 4-byte Folded Spill
	v_fma_f64 v[4:5], v[128:129], s[8:9], v[0:1]
	v_mul_f64 v[0:1], v[122:123], s[28:29]
	buffer_store_dword v0, off, s[60:63], 0 offset:336 ; 4-byte Folded Spill
	buffer_store_dword v1, off, s[60:63], 0 offset:340 ; 4-byte Folded Spill
	v_add_f64 v[4:5], v[20:21], v[4:5]
	v_fma_f64 v[6:7], v[92:93], s[16:17], v[0:1]
	v_mul_f64 v[0:1], v[118:119], s[6:7]
	buffer_store_dword v0, off, s[60:63], 0 offset:592 ; 4-byte Folded Spill
	buffer_store_dword v1, off, s[60:63], 0 offset:596 ; 4-byte Folded Spill
	v_add_f64 v[4:5], v[6:7], v[4:5]
	v_fma_f64 v[6:7], v[132:133], s[8:9], -v[0:1]
	v_mul_f64 v[0:1], v[120:121], s[28:29]
	buffer_store_dword v0, off, s[60:63], 0 offset:392 ; 4-byte Folded Spill
	buffer_store_dword v1, off, s[60:63], 0 offset:396 ; 4-byte Folded Spill
	v_add_f64 v[6:7], v[22:23], v[6:7]
	v_fma_f64 v[8:9], v[94:95], s[16:17], -v[0:1]
	v_mul_f64 v[0:1], v[218:219], s[30:31]
	buffer_store_dword v0, off, s[60:63], 0 offset:384 ; 4-byte Folded Spill
	buffer_store_dword v1, off, s[60:63], 0 offset:388 ; 4-byte Folded Spill
	v_add_f64 v[6:7], v[8:9], v[6:7]
	v_fma_f64 v[8:9], v[98:99], s[24:25], v[0:1]
	v_mul_f64 v[0:1], v[220:221], s[30:31]
	buffer_store_dword v0, off, s[60:63], 0 offset:408 ; 4-byte Folded Spill
	buffer_store_dword v1, off, s[60:63], 0 offset:412 ; 4-byte Folded Spill
	v_add_f64 v[4:5], v[8:9], v[4:5]
	v_fma_f64 v[8:9], v[104:105], s[24:25], -v[0:1]
	v_mul_f64 v[0:1], v[222:223], s[38:39]
	buffer_store_dword v0, off, s[60:63], 0 offset:400 ; 4-byte Folded Spill
	buffer_store_dword v1, off, s[60:63], 0 offset:404 ; 4-byte Folded Spill
	v_add_f64 v[6:7], v[8:9], v[6:7]
	v_fma_f64 v[8:9], v[126:127], s[20:21], v[0:1]
	;; [unrolled: 10-line block ×6, first 2 shown]
	v_add_f64 v[0:1], v[8:9], v[4:5]
	v_mul_f64 v[4:5], v[240:241], s[42:43]
	v_fma_f64 v[8:9], v[150:151], s[0:1], -v[4:5]
	v_add_f64 v[2:3], v[8:9], v[6:7]
	buffer_store_dword v0, off, s[60:63], 0 offset:28 ; 4-byte Folded Spill
	buffer_store_dword v1, off, s[60:63], 0 offset:32 ; 4-byte Folded Spill
	;; [unrolled: 1-line block ×4, first 2 shown]
	v_mul_f64 v[0:1], v[116:117], s[34:35]
	buffer_store_dword v0, off, s[60:63], 0 offset:656 ; 4-byte Folded Spill
	buffer_store_dword v1, off, s[60:63], 0 offset:660 ; 4-byte Folded Spill
	v_fma_f64 v[8:9], v[128:129], s[10:11], v[0:1]
	v_mul_f64 v[0:1], v[122:123], s[30:31]
	buffer_store_dword v0, off, s[60:63], 0 offset:472 ; 4-byte Folded Spill
	buffer_store_dword v1, off, s[60:63], 0 offset:476 ; 4-byte Folded Spill
	v_add_f64 v[8:9], v[20:21], v[8:9]
	v_fma_f64 v[10:11], v[92:93], s[24:25], v[0:1]
	v_mul_f64 v[0:1], v[118:119], s[34:35]
	buffer_store_dword v0, off, s[60:63], 0 offset:664 ; 4-byte Folded Spill
	buffer_store_dword v1, off, s[60:63], 0 offset:668 ; 4-byte Folded Spill
	v_add_f64 v[8:9], v[10:11], v[8:9]
	v_fma_f64 v[10:11], v[132:133], s[10:11], -v[0:1]
	v_mul_f64 v[0:1], v[120:121], s[30:31]
	buffer_store_dword v0, off, s[60:63], 0 offset:488 ; 4-byte Folded Spill
	buffer_store_dword v1, off, s[60:63], 0 offset:492 ; 4-byte Folded Spill
	v_add_f64 v[10:11], v[22:23], v[10:11]
	v_fma_f64 v[36:37], v[94:95], s[24:25], -v[0:1]
	v_mul_f64 v[0:1], v[218:219], s[44:45]
	buffer_store_dword v0, off, s[60:63], 0 offset:480 ; 4-byte Folded Spill
	buffer_store_dword v1, off, s[60:63], 0 offset:484 ; 4-byte Folded Spill
	v_add_f64 v[10:11], v[36:37], v[10:11]
	v_fma_f64 v[36:37], v[98:99], s[20:21], v[0:1]
	v_mul_f64 v[0:1], v[220:221], s[44:45]
	buffer_store_dword v0, off, s[60:63], 0 offset:504 ; 4-byte Folded Spill
	buffer_store_dword v1, off, s[60:63], 0 offset:508 ; 4-byte Folded Spill
	v_add_f64 v[8:9], v[36:37], v[8:9]
	s_mov_b32 s45, 0x3fe58eea
	s_mov_b32 s44, s6
	v_mul_f64 v[148:149], v[220:221], s[44:45]
	v_mul_f64 v[106:107], v[234:235], s[44:45]
	;; [unrolled: 1-line block ×3, first 2 shown]
	v_fma_f64 v[36:37], v[104:105], s[20:21], -v[0:1]
	v_mul_f64 v[0:1], v[222:223], s[46:47]
	buffer_store_dword v0, off, s[60:63], 0 offset:496 ; 4-byte Folded Spill
	buffer_store_dword v1, off, s[60:63], 0 offset:500 ; 4-byte Folded Spill
	v_add_f64 v[10:11], v[36:37], v[10:11]
	v_fma_f64 v[36:37], v[126:127], s[18:19], v[0:1]
	v_mul_f64 v[0:1], v[224:225], s[46:47]
	buffer_store_dword v0, off, s[60:63], 0 offset:520 ; 4-byte Folded Spill
	buffer_store_dword v1, off, s[60:63], 0 offset:524 ; 4-byte Folded Spill
	v_add_f64 v[8:9], v[36:37], v[8:9]
	v_fma_f64 v[36:37], v[140:141], s[18:19], -v[0:1]
	v_mul_f64 v[0:1], v[226:227], s[44:45]
	buffer_store_dword v0, off, s[60:63], 0 offset:512 ; 4-byte Folded Spill
	buffer_store_dword v1, off, s[60:63], 0 offset:516 ; 4-byte Folded Spill
	v_add_f64 v[10:11], v[36:37], v[10:11]
	v_fma_f64 v[36:37], v[138:139], s[8:9], v[0:1]
	v_mul_f64 v[0:1], v[228:229], s[44:45]
	buffer_store_dword v0, off, s[60:63], 0 offset:552 ; 4-byte Folded Spill
	buffer_store_dword v1, off, s[60:63], 0 offset:556 ; 4-byte Folded Spill
	v_add_f64 v[8:9], v[36:37], v[8:9]
	;; [unrolled: 10-line block ×4, first 2 shown]
	v_fma_f64 v[36:37], v[170:171], s[16:17], -v[0:1]
	v_mul_f64 v[0:1], v[238:239], s[36:37]
	buffer_store_dword v0, off, s[60:63], 0 offset:376 ; 4-byte Folded Spill
	buffer_store_dword v1, off, s[60:63], 0 offset:380 ; 4-byte Folded Spill
	v_add_f64 v[10:11], v[36:37], v[10:11]
	v_fma_f64 v[36:37], v[146:147], s[22:23], v[0:1]
	v_add_f64 v[0:1], v[36:37], v[8:9]
	v_mul_f64 v[7:8], v[240:241], s[36:37]
	v_fma_f64 v[36:37], v[150:151], s[22:23], -v[7:8]
	v_add_f64 v[2:3], v[36:37], v[10:11]
	buffer_store_dword v0, off, s[60:63], 0 offset:44 ; 4-byte Folded Spill
	buffer_store_dword v1, off, s[60:63], 0 offset:48 ; 4-byte Folded Spill
	;; [unrolled: 1-line block ×4, first 2 shown]
	v_mul_f64 v[0:1], v[122:123], s[38:39]
	buffer_store_dword v0, off, s[60:63], 0 offset:584 ; 4-byte Folded Spill
	buffer_store_dword v1, off, s[60:63], 0 offset:588 ; 4-byte Folded Spill
	v_fma_f64 v[36:37], v[128:129], s[16:17], v[168:169]
	v_mul_f64 v[9:10], v[238:239], s[44:45]
	v_mul_f64 v[2:3], v[232:233], s[38:39]
	v_add_f64 v[36:37], v[20:21], v[36:37]
	v_fma_f64 v[38:39], v[92:93], s[20:21], v[0:1]
	v_mul_f64 v[0:1], v[120:121], s[38:39]
	buffer_store_dword v0, off, s[60:63], 0 offset:608 ; 4-byte Folded Spill
	buffer_store_dword v1, off, s[60:63], 0 offset:612 ; 4-byte Folded Spill
	v_add_f64 v[36:37], v[38:39], v[36:37]
	v_fma_f64 v[38:39], v[132:133], s[16:17], -v[176:177]
	v_add_f64 v[38:39], v[22:23], v[38:39]
	v_fma_f64 v[56:57], v[94:95], s[20:21], -v[0:1]
	v_mul_f64 v[0:1], v[218:219], s[46:47]
	buffer_store_dword v0, off, s[60:63], 0 offset:600 ; 4-byte Folded Spill
	buffer_store_dword v1, off, s[60:63], 0 offset:604 ; 4-byte Folded Spill
	v_add_f64 v[38:39], v[56:57], v[38:39]
	v_fma_f64 v[56:57], v[98:99], s[18:19], v[0:1]
	v_mul_f64 v[0:1], v[220:221], s[46:47]
	buffer_store_dword v0, off, s[60:63], 0 offset:624 ; 4-byte Folded Spill
	buffer_store_dword v1, off, s[60:63], 0 offset:628 ; 4-byte Folded Spill
	v_add_f64 v[36:37], v[56:57], v[36:37]
	v_fma_f64 v[56:57], v[104:105], s[18:19], -v[0:1]
	v_mul_f64 v[0:1], v[222:223], s[42:43]
	buffer_store_dword v0, off, s[60:63], 0 offset:616 ; 4-byte Folded Spill
	buffer_store_dword v1, off, s[60:63], 0 offset:620 ; 4-byte Folded Spill
	v_add_f64 v[38:39], v[56:57], v[38:39]
	v_fma_f64 v[56:57], v[126:127], s[0:1], v[0:1]
	v_mul_f64 v[0:1], v[224:225], s[42:43]
	buffer_store_dword v0, off, s[60:63], 0 offset:640 ; 4-byte Folded Spill
	buffer_store_dword v1, off, s[60:63], 0 offset:644 ; 4-byte Folded Spill
	;; [unrolled: 10-line block ×3, first 2 shown]
	v_add_f64 v[36:37], v[56:57], v[36:37]
	s_mov_b32 s35, 0x3fefdd0d
	s_mov_b32 s34, s28
	v_mul_f64 v[156:157], v[230:231], s[34:35]
	v_mul_f64 v[174:175], v[232:233], s[34:35]
	;; [unrolled: 1-line block ×4, first 2 shown]
	v_fma_f64 v[56:57], v[162:163], s[10:11], -v[0:1]
	v_mul_f64 v[0:1], v[230:231], s[36:37]
	buffer_store_dword v0, off, s[60:63], 0 offset:560 ; 4-byte Folded Spill
	buffer_store_dword v1, off, s[60:63], 0 offset:564 ; 4-byte Folded Spill
	v_add_f64 v[38:39], v[56:57], v[38:39]
	v_fma_f64 v[56:57], v[154:155], s[22:23], v[0:1]
	v_mul_f64 v[0:1], v[232:233], s[36:37]
	buffer_store_dword v0, off, s[60:63], 0 offset:568 ; 4-byte Folded Spill
	buffer_store_dword v1, off, s[60:63], 0 offset:572 ; 4-byte Folded Spill
	v_add_f64 v[36:37], v[56:57], v[36:37]
	v_fma_f64 v[56:57], v[166:167], s[22:23], -v[0:1]
	v_mul_f64 v[0:1], v[234:235], s[50:51]
	buffer_store_dword v0, off, s[60:63], 0 offset:536 ; 4-byte Folded Spill
	buffer_store_dword v1, off, s[60:63], 0 offset:540 ; 4-byte Folded Spill
	v_add_f64 v[38:39], v[56:57], v[38:39]
	v_fma_f64 v[56:57], v[158:159], s[24:25], v[0:1]
	v_mul_f64 v[0:1], v[236:237], s[50:51]
	buffer_store_dword v0, off, s[60:63], 0 offset:544 ; 4-byte Folded Spill
	buffer_store_dword v1, off, s[60:63], 0 offset:548 ; 4-byte Folded Spill
	v_add_f64 v[36:37], v[56:57], v[36:37]
	v_fma_f64 v[56:57], v[170:171], s[24:25], -v[0:1]
	v_mul_f64 v[0:1], v[240:241], s[44:45]
	buffer_store_dword v0, off, s[60:63], 0 offset:528 ; 4-byte Folded Spill
	buffer_store_dword v1, off, s[60:63], 0 offset:532 ; 4-byte Folded Spill
	v_add_f64 v[38:39], v[56:57], v[38:39]
	v_fma_f64 v[56:57], v[146:147], s[8:9], v[9:10]
	v_add_f64 v[56:57], v[56:57], v[36:37]
	v_fma_f64 v[36:37], v[150:151], s[8:9], -v[0:1]
	v_mul_f64 v[0:1], v[122:123], s[48:49]
	buffer_store_dword v0, off, s[60:63], 0 offset:672 ; 4-byte Folded Spill
	buffer_store_dword v1, off, s[60:63], 0 offset:676 ; 4-byte Folded Spill
	v_add_f64 v[58:59], v[36:37], v[38:39]
	v_fma_f64 v[36:37], v[128:129], s[18:19], v[190:191]
	v_add_f64 v[36:37], v[20:21], v[36:37]
	v_fma_f64 v[38:39], v[92:93], s[22:23], v[0:1]
	v_mul_f64 v[0:1], v[218:219], s[44:45]
	buffer_store_dword v0, off, s[60:63], 0 offset:680 ; 4-byte Folded Spill
	buffer_store_dword v1, off, s[60:63], 0 offset:684 ; 4-byte Folded Spill
	v_add_f64 v[36:37], v[38:39], v[36:37]
	v_fma_f64 v[38:39], v[132:133], s[18:19], -v[196:197]
	v_add_f64 v[38:39], v[22:23], v[38:39]
	v_add_f64 v[38:39], v[76:77], v[38:39]
	v_fma_f64 v[76:77], v[98:99], s[8:9], v[0:1]
	v_add_f64 v[36:37], v[76:77], v[36:37]
	v_fma_f64 v[76:77], v[104:105], s[8:9], -v[148:149]
	v_add_f64 v[38:39], v[76:77], v[38:39]
	v_fma_f64 v[76:77], v[126:127], s[10:11], v[136:137]
	v_add_f64 v[36:37], v[76:77], v[36:37]
	v_fma_f64 v[76:77], v[140:141], s[10:11], -v[152:153]
	;; [unrolled: 4-line block ×6, first 2 shown]
	v_fma_f64 v[76:77], v[94:95], s[18:19], -v[188:189]
	v_add_f64 v[110:111], v[36:37], v[38:39]
	v_fma_f64 v[36:37], v[128:129], s[24:25], v[214:215]
	v_fma_f64 v[38:39], v[92:93], s[18:19], v[182:183]
	v_add_f64 v[36:37], v[20:21], v[36:37]
	v_add_f64 v[36:37], v[38:39], v[36:37]
	v_fma_f64 v[38:39], v[132:133], s[24:25], -v[216:217]
	v_add_f64 v[38:39], v[22:23], v[38:39]
	v_add_f64 v[38:39], v[76:77], v[38:39]
	v_fma_f64 v[76:77], v[98:99], s[0:1], v[184:185]
	v_add_f64 v[36:37], v[76:77], v[36:37]
	v_fma_f64 v[76:77], v[104:105], s[0:1], -v[194:195]
	v_add_f64 v[38:39], v[76:77], v[38:39]
	v_fma_f64 v[76:77], v[126:127], s[22:23], v[186:187]
	v_add_f64 v[36:37], v[76:77], v[36:37]
	v_fma_f64 v[76:77], v[140:141], s[22:23], -v[200:201]
	;; [unrolled: 4-line block ×6, first 2 shown]
	v_add_f64 v[78:79], v[36:37], v[38:39]
	v_fma_f64 v[36:37], v[128:129], s[22:23], -v[112:113]
	v_fma_f64 v[38:39], v[92:93], s[10:11], -v[114:115]
	v_fma_f64 v[112:113], v[128:129], s[22:23], v[112:113]
	v_fma_f64 v[114:115], v[92:93], s[10:11], v[114:115]
	v_add_f64 v[36:37], v[20:21], v[36:37]
	v_add_f64 v[112:113], v[20:21], v[112:113]
	v_add_f64 v[36:37], v[38:39], v[36:37]
	v_fma_f64 v[38:39], v[132:133], s[22:23], v[242:243]
	v_add_f64 v[112:113], v[114:115], v[112:113]
	v_fma_f64 v[114:115], v[132:133], s[22:23], -v[242:243]
	v_add_f64 v[38:39], v[22:23], v[38:39]
	v_add_f64 v[114:115], v[22:23], v[114:115]
	;; [unrolled: 1-line block ×3, first 2 shown]
	v_mul_f64 v[246:247], v[218:219], s[28:29]
	v_fma_f64 v[248:249], v[98:99], s[16:17], -v[246:247]
	v_add_f64 v[36:37], v[248:249], v[36:37]
	v_mul_f64 v[248:249], v[220:221], s[28:29]
	v_fma_f64 v[250:251], v[104:105], s[16:17], v[248:249]
	v_add_f64 v[38:39], v[250:251], v[38:39]
	v_mul_f64 v[250:251], v[222:223], s[50:51]
	v_fma_f64 v[252:253], v[126:127], s[24:25], -v[250:251]
	v_add_f64 v[36:37], v[252:253], v[36:37]
	v_mul_f64 v[252:253], v[224:225], s[50:51]
	v_fma_f64 v[96:97], v[140:141], s[24:25], v[252:253]
	v_add_f64 v[38:39], v[96:97], v[38:39]
	v_mul_f64 v[96:97], v[226:227], s[2:3]
	v_fma_f64 v[100:101], v[138:139], s[0:1], -v[96:97]
	v_fma_f64 v[96:97], v[138:139], s[0:1], v[96:97]
	v_add_f64 v[36:37], v[100:101], v[36:37]
	v_mul_f64 v[100:101], v[228:229], s[2:3]
	s_clause 0x1
	s_load_dwordx2 s[6:7], s[4:5], 0x20
	s_load_dwordx2 s[2:3], s[4:5], 0x8
	s_waitcnt lgkmcnt(0)
	s_waitcnt_vscnt null, 0x0
	s_barrier
	buffer_gl0_inv
	buffer_load_dword v6, off, s[60:63], 0 offset:8 ; 4-byte Folded Reload
	v_fma_f64 v[102:103], v[162:163], s[0:1], v[100:101]
	v_fma_f64 v[100:101], v[162:163], s[0:1], -v[100:101]
	v_add_f64 v[38:39], v[102:103], v[38:39]
	v_mul_f64 v[102:103], v[230:231], s[38:39]
	v_fma_f64 v[0:1], v[154:155], s[20:21], -v[102:103]
	v_fma_f64 v[102:103], v[154:155], s[20:21], v[102:103]
	v_add_f64 v[0:1], v[0:1], v[36:37]
	v_fma_f64 v[36:37], v[166:167], s[20:21], v[2:3]
	v_fma_f64 v[2:3], v[166:167], s[20:21], -v[2:3]
	v_add_f64 v[36:37], v[36:37], v[38:39]
	v_fma_f64 v[38:39], v[158:159], s[8:9], -v[106:107]
	v_add_f64 v[0:1], v[38:39], v[0:1]
	v_fma_f64 v[38:39], v[170:171], s[8:9], v[124:125]
	v_add_f64 v[38:39], v[38:39], v[36:37]
	v_fma_f64 v[36:37], v[146:147], s[18:19], -v[130:131]
	v_add_f64 v[36:37], v[36:37], v[0:1]
	v_mul_f64 v[0:1], v[240:241], s[26:27]
	v_fma_f64 v[134:135], v[150:151], s[18:19], v[0:1]
	v_fma_f64 v[0:1], v[150:151], s[18:19], -v[0:1]
	v_add_f64 v[38:39], v[134:135], v[38:39]
	v_fma_f64 v[134:135], v[94:95], s[10:11], -v[244:245]
	v_add_f64 v[114:115], v[134:135], v[114:115]
	v_fma_f64 v[134:135], v[98:99], s[16:17], v[246:247]
	v_add_f64 v[112:113], v[134:135], v[112:113]
	v_fma_f64 v[134:135], v[104:105], s[16:17], -v[248:249]
	v_add_f64 v[114:115], v[134:135], v[114:115]
	v_fma_f64 v[134:135], v[126:127], s[24:25], v[250:251]
	v_add_f64 v[112:113], v[134:135], v[112:113]
	v_fma_f64 v[134:135], v[140:141], s[24:25], -v[252:253]
	v_add_f64 v[96:97], v[96:97], v[112:113]
	v_add_f64 v[114:115], v[134:135], v[114:115]
	v_mul_f64 v[134:135], v[226:227], s[30:31]
	v_mul_f64 v[226:227], v[236:237], s[26:27]
	v_add_f64 v[96:97], v[102:103], v[96:97]
	v_add_f64 v[100:101], v[100:101], v[114:115]
	v_mul_f64 v[102:103], v[120:121], s[42:43]
	v_mul_f64 v[120:121], v[218:219], s[36:37]
	;; [unrolled: 1-line block ×4, first 2 shown]
	v_add_f64 v[2:3], v[2:3], v[100:101]
	v_fma_f64 v[100:101], v[158:159], s[8:9], v[106:107]
	v_add_f64 v[96:97], v[100:101], v[96:97]
	v_fma_f64 v[100:101], v[170:171], s[8:9], -v[124:125]
	v_mul_f64 v[124:125], v[222:223], s[44:45]
	v_mul_f64 v[222:223], v[232:233], s[40:41]
	v_add_f64 v[2:3], v[100:101], v[2:3]
	v_fma_f64 v[100:101], v[146:147], s[18:19], v[130:131]
	v_mul_f64 v[130:131], v[224:225], s[44:45]
	v_mul_f64 v[224:225], v[234:235], s[26:27]
	v_add_f64 v[114:115], v[0:1], v[2:3]
	v_mul_f64 v[0:1], v[116:117], s[38:39]
	v_add_f64 v[112:113], v[100:101], v[96:97]
	v_mul_f64 v[2:3], v[122:123], s[42:43]
	v_fma_f64 v[116:117], v[94:95], s[0:1], v[102:103]
	v_mul_f64 v[122:123], v[220:221], s[36:37]
	v_mul_f64 v[220:221], v[230:231], s[40:41]
	;; [unrolled: 1-line block ×3, first 2 shown]
	v_fma_f64 v[96:97], v[128:129], s[20:21], -v[0:1]
	v_fma_f64 v[0:1], v[128:129], s[20:21], v[0:1]
	v_fma_f64 v[100:101], v[92:93], s[0:1], -v[2:3]
	v_fma_f64 v[2:3], v[92:93], s[0:1], v[2:3]
	v_add_f64 v[96:97], v[20:21], v[96:97]
	v_add_f64 v[0:1], v[20:21], v[0:1]
	;; [unrolled: 1-line block ×3, first 2 shown]
	v_mul_f64 v[100:101], v[118:119], s[38:39]
	v_add_f64 v[0:1], v[2:3], v[0:1]
	v_fma_f64 v[106:107], v[132:133], s[20:21], v[100:101]
	v_fma_f64 v[2:3], v[132:133], s[20:21], -v[100:101]
	v_fma_f64 v[100:101], v[150:151], s[16:17], -v[230:231]
	v_add_f64 v[106:107], v[22:23], v[106:107]
	v_add_f64 v[2:3], v[22:23], v[2:3]
	;; [unrolled: 1-line block ×3, first 2 shown]
	v_fma_f64 v[116:117], v[98:99], s[22:23], -v[120:121]
	v_add_f64 v[96:97], v[116:117], v[96:97]
	v_fma_f64 v[116:117], v[104:105], s[22:23], v[122:123]
	v_add_f64 v[106:107], v[116:117], v[106:107]
	v_fma_f64 v[116:117], v[126:127], s[8:9], -v[124:125]
	v_add_f64 v[96:97], v[116:117], v[96:97]
	v_fma_f64 v[116:117], v[140:141], s[8:9], v[130:131]
	v_add_f64 v[106:107], v[116:117], v[106:107]
	;; [unrolled: 4-line block ×12, first 2 shown]
	v_add_f64 v[120:121], v[96:97], v[0:1]
	s_waitcnt vmcnt(0)
	v_mul_lo_u16 v0, v6, 17
	buffer_store_dword v0, off, s[60:63], 0 offset:252 ; 4-byte Folded Spill
	s_and_saveexec_b32 s4, vcc_lo
	s_cbranch_execz .LBB0_7
; %bb.6:
	v_add_f64 v[0:1], v[22:23], v[42:43]
	v_add_f64 v[2:3], v[20:21], v[40:41]
	v_mov_b32_e32 v231, v10
	v_mov_b32_e32 v230, v9
	;; [unrolled: 1-line block ×6, first 2 shown]
	v_mul_f64 v[134:135], v[98:99], s[8:9]
	v_mul_f64 v[40:41], v[132:133], s[16:17]
	;; [unrolled: 1-line block ×14, first 2 shown]
	v_add_f64 v[0:1], v[0:1], v[46:47]
	v_add_f64 v[2:3], v[2:3], v[44:45]
	s_clause 0x1
	buffer_load_dword v46, off, s[60:63], 0 offset:664
	buffer_load_dword v47, off, s[60:63], 0 offset:668
	v_mul_f64 v[44:45], v[132:133], s[10:11]
	v_mul_f64 v[228:229], v[150:151], s[8:9]
	v_add_f64 v[40:41], v[176:177], v[40:41]
	v_add_f64 v[102:103], v[142:143], v[102:103]
	v_mul_f64 v[142:143], v[162:163], s[10:11]
	v_add_f64 v[130:131], v[130:131], -v[144:145]
	v_mul_f64 v[144:145], v[140:141], s[0:1]
	v_add_f64 v[100:101], v[148:149], v[100:101]
	v_mul_f64 v[148:149], v[104:105], s[18:19]
	v_add_f64 v[96:97], v[152:153], v[96:97]
	v_mul_f64 v[152:153], v[94:95], s[20:21]
	v_add_f64 v[124:125], v[124:125], -v[164:165]
	v_mul_f64 v[164:165], v[98:99], s[18:19]
	v_add_f64 v[42:43], v[42:43], -v[168:169]
	v_mul_f64 v[168:169], v[92:93], s[20:21]
	v_add_f64 v[0:1], v[0:1], v[50:51]
	v_add_f64 v[2:3], v[2:3], v[48:49]
	s_clause 0x3
	buffer_load_dword v48, off, s[60:63], 0 offset:656
	buffer_load_dword v49, off, s[60:63], 0 offset:660
	;; [unrolled: 1-line block ×4, first 2 shown]
	v_add_f64 v[106:107], v[106:107], -v[172:173]
	v_mul_f64 v[172:173], v[162:163], s[8:9]
	v_mul_f64 v[176:177], v[104:105], s[20:21]
	v_add_f64 v[40:41], v[22:23], v[40:41]
	v_add_f64 v[42:43], v[20:21], v[42:43]
	;; [unrolled: 1-line block ×4, first 2 shown]
	s_clause 0x3
	buffer_load_dword v52, off, s[60:63], 0 offset:576
	buffer_load_dword v53, off, s[60:63], 0 offset:580
	buffer_load_dword v4, off, s[60:63], 0 offset:140
	buffer_load_dword v5, off, s[60:63], 0 offset:144
	v_mul_f64 v[54:55], v[128:129], s[0:1]
	v_add_f64 v[0:1], v[0:1], v[62:63]
	v_add_f64 v[2:3], v[2:3], v[60:61]
	v_mul_f64 v[62:63], v[104:105], s[0:1]
	v_mul_f64 v[60:61], v[140:141], s[22:23]
	v_add_f64 v[0:1], v[0:1], v[66:67]
	v_add_f64 v[2:3], v[2:3], v[64:65]
	v_mul_f64 v[64:65], v[94:95], s[18:19]
	v_add_f64 v[62:63], v[194:195], v[62:63]
	v_mul_f64 v[194:195], v[94:95], s[16:17]
	;; [unrolled: 2-line block ×3, first 2 shown]
	v_mul_f64 v[66:67], v[146:147], s[10:11]
	v_add_f64 v[0:1], v[0:1], v[70:71]
	v_add_f64 v[2:3], v[2:3], v[68:69]
	v_add_f64 v[64:65], v[188:189], v[64:65]
	v_mul_f64 v[188:189], v[162:163], s[22:23]
	v_mul_f64 v[70:71], v[154:155], s[8:9]
	;; [unrolled: 1-line block ×4, first 2 shown]
	v_add_f64 v[66:67], v[66:67], -v[206:207]
	v_mul_f64 v[206:207], v[154:155], s[22:23]
	v_add_f64 v[0:1], v[0:1], v[82:83]
	v_add_f64 v[2:3], v[2:3], v[80:81]
	v_mul_f64 v[82:83], v[92:93], s[18:19]
	v_mul_f64 v[80:81], v[98:99], s[0:1]
	v_add_f64 v[70:71], v[70:71], -v[198:199]
	v_mul_f64 v[198:199], v[126:127], s[20:21]
	v_add_f64 v[68:69], v[68:69], -v[202:203]
	v_mul_f64 v[202:203], v[92:93], s[16:17]
	v_add_f64 v[0:1], v[0:1], v[86:87]
	v_add_f64 v[2:3], v[2:3], v[84:85]
	v_mul_f64 v[86:87], v[170:171], s[0:1]
	v_mul_f64 v[84:85], v[150:151], s[24:25]
	v_add_f64 v[82:83], v[82:83], -v[182:183]
	v_mul_f64 v[182:183], v[126:127], s[18:19]
	v_add_f64 v[80:81], v[80:81], -v[184:185]
	v_mul_f64 v[184:185], v[98:99], s[20:21]
	v_mul_f64 v[98:99], v[98:99], s[10:11]
	v_add_f64 v[0:1], v[0:1], v[90:91]
	v_add_f64 v[2:3], v[2:3], v[88:89]
	v_mul_f64 v[90:91], v[162:163], s[20:21]
	v_mul_f64 v[88:89], v[166:167], s[16:17]
	v_add_f64 v[86:87], v[178:179], v[86:87]
	v_mul_f64 v[178:179], v[94:95], s[24:25]
	v_add_f64 v[84:85], v[180:181], v[84:85]
	v_mul_f64 v[180:181], v[138:139], s[8:9]
	v_mul_f64 v[94:95], v[94:95], s[8:9]
	v_add_f64 v[0:1], v[0:1], v[74:75]
	v_add_f64 v[2:3], v[2:3], v[72:73]
	v_add_f64 v[90:91], v[160:161], v[90:91]
	v_mul_f64 v[160:161], v[126:127], s[0:1]
	v_add_f64 v[88:89], v[174:175], v[88:89]
	v_mul_f64 v[174:175], v[140:141], s[18:19]
	v_mul_f64 v[74:75], v[126:127], s[22:23]
	;; [unrolled: 1-line block ×3, first 2 shown]
	v_add_f64 v[0:1], v[0:1], v[34:35]
	v_add_f64 v[2:3], v[2:3], v[32:33]
	v_mul_f64 v[32:33], v[132:133], s[18:19]
	v_mul_f64 v[34:35], v[128:129], s[18:19]
	v_add_f64 v[74:75], v[74:75], -v[186:187]
	v_mul_f64 v[186:187], v[92:93], s[24:25]
	v_add_f64 v[72:73], v[72:73], -v[192:193]
	v_mul_f64 v[192:193], v[104:105], s[24:25]
	v_mul_f64 v[104:105], v[104:105], s[10:11]
	v_add_f64 v[0:1], v[0:1], v[30:31]
	v_add_f64 v[2:3], v[2:3], v[28:29]
	v_mul_f64 v[28:29], v[132:133], s[24:25]
	v_mul_f64 v[30:31], v[128:129], s[24:25]
	v_add_f64 v[34:35], v[34:35], -v[190:191]
	v_mul_f64 v[190:191], v[140:141], s[20:21]
	v_add_f64 v[32:33], v[196:197], v[32:33]
	v_mul_f64 v[196:197], v[138:139], s[22:23]
	v_mul_f64 v[140:141], v[140:141], s[16:17]
	v_add_f64 v[0:1], v[0:1], v[26:27]
	v_mul_f64 v[26:27], v[170:171], s[20:21]
	v_add_f64 v[28:29], v[216:217], v[28:29]
	v_add_f64 v[30:31], v[30:31], -v[214:215]
	v_add_f64 v[34:35], v[20:21], v[34:35]
	v_add_f64 v[2:3], v[2:3], v[24:25]
	;; [unrolled: 1-line block ×3, first 2 shown]
	v_mul_f64 v[24:25], v[150:151], s[10:11]
	v_mul_f64 v[214:215], v[154:155], s[18:19]
	;; [unrolled: 1-line block ×4, first 2 shown]
	v_add_f64 v[0:1], v[0:1], v[18:19]
	v_add_f64 v[26:27], v[210:211], v[26:27]
	;; [unrolled: 1-line block ×4, first 2 shown]
	v_mul_f64 v[210:211], v[154:155], s[0:1]
	v_add_f64 v[2:3], v[2:3], v[16:17]
	v_add_f64 v[32:33], v[102:103], v[32:33]
	;; [unrolled: 1-line block ×3, first 2 shown]
	v_mul_f64 v[212:213], v[166:167], s[18:19]
	v_add_f64 v[14:15], v[0:1], v[14:15]
	v_mul_lo_u16 v0, v6, 17
	v_add_f64 v[28:29], v[64:65], v[28:29]
	v_add_f64 v[30:31], v[82:83], v[30:31]
	v_mul_f64 v[64:65], v[146:147], s[8:9]
	v_add_f64 v[12:13], v[2:3], v[12:13]
	v_add_f64 v[32:33], v[100:101], v[32:33]
	s_waitcnt vmcnt(8)
	v_add_f64 v[44:45], v[46:47], v[44:45]
	v_mul_f64 v[46:47], v[128:129], s[10:11]
	v_add_f64 v[28:29], v[62:63], v[28:29]
	v_add_f64 v[30:31], v[80:81], v[30:31]
	v_mul_f64 v[62:63], v[150:151], s[22:23]
	v_add_f64 v[64:65], v[64:65], -v[230:231]
	v_add_f64 v[32:33], v[96:97], v[32:33]
	v_add_f64 v[44:45], v[22:23], v[44:45]
	s_waitcnt vmcnt(6)
	v_add_f64 v[46:47], v[46:47], -v[48:49]
	v_mul_f64 v[48:49], v[132:133], s[8:9]
	v_add_f64 v[28:29], v[60:61], v[28:29]
	v_mul_f64 v[60:61], v[146:147], s[22:23]
	v_add_f64 v[30:31], v[74:75], v[30:31]
	v_add_f64 v[62:63], v[9:10], v[62:63]
	;; [unrolled: 1-line block ×4, first 2 shown]
	s_waitcnt vmcnt(4)
	v_add_f64 v[48:49], v[50:51], v[48:49]
	v_mul_f64 v[50:51], v[128:129], s[8:9]
	v_mul_f64 v[128:129], v[154:155], s[16:17]
	v_mul_f64 v[154:155], v[154:155], s[24:25]
	v_add_f64 v[30:31], v[72:73], v[30:31]
	v_mul_f64 v[72:73], v[146:147], s[20:21]
	v_add_f64 v[32:33], v[88:89], v[32:33]
	v_add_f64 v[48:49], v[22:23], v[48:49]
	s_waitcnt vmcnt(2)
	v_add_f64 v[50:51], v[50:51], -v[52:53]
	v_mul_f64 v[52:53], v[132:133], s[0:1]
	v_mul_f64 v[132:133], v[126:127], s[10:11]
	v_add_f64 v[128:129], v[128:129], -v[156:157]
	v_mul_f64 v[156:157], v[138:139], s[10:11]
	v_mul_f64 v[126:127], v[126:127], s[16:17]
	;; [unrolled: 1-line block ×3, first 2 shown]
	v_add_f64 v[30:31], v[70:71], v[30:31]
	v_mul_f64 v[70:71], v[150:151], s[20:21]
	v_add_f64 v[50:51], v[20:21], v[50:51]
	s_waitcnt vmcnt(0)
	v_add_f64 v[52:53], v[4:5], v[52:53]
	s_clause 0x1
	buffer_load_dword v4, off, s[60:63], 0 offset:124
	buffer_load_dword v5, off, s[60:63], 0 offset:128
	v_add_f64 v[132:133], v[132:133], -v[136:137]
	v_mul_f64 v[136:137], v[92:93], s[22:23]
	v_mul_f64 v[92:93], v[92:93], s[8:9]
	v_add_f64 v[22:23], v[22:23], v[52:53]
	v_mul_f64 v[52:53], v[166:167], s[8:9]
	v_add_f64 v[52:53], v[208:209], v[52:53]
	v_mul_f64 v[208:209], v[166:167], s[0:1]
	s_waitcnt vmcnt(0)
	v_add_f64 v[54:55], v[54:55], -v[4:5]
	s_clause 0x1
	buffer_load_dword v4, off, s[60:63], 0 offset:680
	buffer_load_dword v5, off, s[60:63], 0 offset:684
	v_add_f64 v[20:21], v[20:21], v[54:55]
	v_mul_f64 v[54:55], v[162:163], s[16:17]
	v_mul_f64 v[162:163], v[162:163], s[18:19]
	v_add_f64 v[54:55], v[204:205], v[54:55]
	v_mul_f64 v[204:205], v[166:167], s[22:23]
	v_mul_f64 v[166:167], v[166:167], s[24:25]
	v_add_f64 v[28:29], v[54:55], v[28:29]
	v_mul_f64 v[54:55], v[150:151], s[0:1]
	v_add_f64 v[28:29], v[52:53], v[28:29]
	;; [unrolled: 2-line block ×3, first 2 shown]
	v_add_f64 v[26:27], v[26:27], v[28:29]
	v_add_f64 v[28:29], v[68:69], v[30:31]
	;; [unrolled: 1-line block ×5, first 2 shown]
	s_waitcnt vmcnt(0)
	v_add_f64 v[134:135], v[134:135], -v[4:5]
	s_clause 0x1
	buffer_load_dword v4, off, s[60:63], 0 offset:672
	buffer_load_dword v5, off, s[60:63], 0 offset:676
	s_waitcnt vmcnt(0)
	v_add_f64 v[136:137], v[136:137], -v[4:5]
	s_clause 0x1
	buffer_load_dword v4, off, s[60:63], 0 offset:648
	buffer_load_dword v5, off, s[60:63], 0 offset:652
	v_add_f64 v[34:35], v[136:137], v[34:35]
	v_add_f64 v[34:35], v[134:135], v[34:35]
	v_add_f64 v[34:35], v[132:133], v[34:35]
	v_add_f64 v[34:35], v[130:131], v[34:35]
	v_add_f64 v[34:35], v[128:129], v[34:35]
	v_add_f64 v[74:75], v[124:125], v[34:35]
	s_waitcnt vmcnt(0)
	v_add_f64 v[142:143], v[4:5], v[142:143]
	s_clause 0x1
	buffer_load_dword v4, off, s[60:63], 0 offset:640
	buffer_load_dword v5, off, s[60:63], 0 offset:644
	s_waitcnt vmcnt(0)
	v_add_f64 v[144:145], v[4:5], v[144:145]
	s_clause 0x1
	buffer_load_dword v4, off, s[60:63], 0 offset:624
	buffer_load_dword v5, off, s[60:63], 0 offset:628
	s_waitcnt vmcnt(0)
	v_add_f64 v[148:149], v[4:5], v[148:149]
	s_clause 0x1
	buffer_load_dword v4, off, s[60:63], 0 offset:608
	buffer_load_dword v5, off, s[60:63], 0 offset:612
	s_waitcnt vmcnt(0)
	v_add_f64 v[152:153], v[4:5], v[152:153]
	s_clause 0x1
	buffer_load_dword v4, off, s[60:63], 0 offset:632
	buffer_load_dword v5, off, s[60:63], 0 offset:636
	v_add_f64 v[40:41], v[152:153], v[40:41]
	v_add_f64 v[40:41], v[148:149], v[40:41]
	v_add_f64 v[40:41], v[144:145], v[40:41]
	v_add_f64 v[40:41], v[142:143], v[40:41]
	s_waitcnt vmcnt(0)
	v_add_f64 v[156:157], v[156:157], -v[4:5]
	s_clause 0x1
	buffer_load_dword v4, off, s[60:63], 0 offset:616
	buffer_load_dword v5, off, s[60:63], 0 offset:620
	s_waitcnt vmcnt(0)
	v_add_f64 v[160:161], v[160:161], -v[4:5]
	s_clause 0x1
	buffer_load_dword v4, off, s[60:63], 0 offset:600
	buffer_load_dword v5, off, s[60:63], 0 offset:604
	s_waitcnt vmcnt(0)
	v_add_f64 v[164:165], v[164:165], -v[4:5]
	s_clause 0x1
	buffer_load_dword v4, off, s[60:63], 0 offset:584
	buffer_load_dword v5, off, s[60:63], 0 offset:588
	s_waitcnt vmcnt(0)
	v_add_f64 v[168:169], v[168:169], -v[4:5]
	s_clause 0x1
	buffer_load_dword v4, off, s[60:63], 0 offset:552
	buffer_load_dword v5, off, s[60:63], 0 offset:556
	v_add_f64 v[42:43], v[168:169], v[42:43]
	v_add_f64 v[42:43], v[164:165], v[42:43]
	v_add_f64 v[42:43], v[160:161], v[42:43]
	v_add_f64 v[42:43], v[156:157], v[42:43]
	s_waitcnt vmcnt(0)
	v_add_f64 v[172:173], v[4:5], v[172:173]
	s_clause 0x1
	buffer_load_dword v4, off, s[60:63], 0 offset:520
	buffer_load_dword v5, off, s[60:63], 0 offset:524
	s_waitcnt vmcnt(0)
	v_add_f64 v[174:175], v[4:5], v[174:175]
	s_clause 0x1
	buffer_load_dword v4, off, s[60:63], 0 offset:504
	buffer_load_dword v5, off, s[60:63], 0 offset:508
	s_waitcnt vmcnt(0)
	v_add_f64 v[176:177], v[4:5], v[176:177]
	s_clause 0x1
	buffer_load_dword v4, off, s[60:63], 0 offset:488
	buffer_load_dword v5, off, s[60:63], 0 offset:492
	s_waitcnt vmcnt(0)
	v_add_f64 v[178:179], v[4:5], v[178:179]
	s_clause 0x1
	buffer_load_dword v4, off, s[60:63], 0 offset:512
	buffer_load_dword v5, off, s[60:63], 0 offset:516
	v_add_f64 v[44:45], v[178:179], v[44:45]
	v_add_f64 v[44:45], v[176:177], v[44:45]
	v_add_f64 v[44:45], v[174:175], v[44:45]
	v_add_f64 v[44:45], v[172:173], v[44:45]
	s_waitcnt vmcnt(0)
	v_add_f64 v[180:181], v[180:181], -v[4:5]
	s_clause 0x1
	buffer_load_dword v4, off, s[60:63], 0 offset:496
	buffer_load_dword v5, off, s[60:63], 0 offset:500
	s_waitcnt vmcnt(0)
	v_add_f64 v[182:183], v[182:183], -v[4:5]
	s_clause 0x1
	buffer_load_dword v4, off, s[60:63], 0 offset:480
	buffer_load_dword v5, off, s[60:63], 0 offset:484
	s_waitcnt vmcnt(0)
	v_add_f64 v[184:185], v[184:185], -v[4:5]
	s_clause 0x1
	buffer_load_dword v4, off, s[60:63], 0 offset:472
	buffer_load_dword v5, off, s[60:63], 0 offset:476
	s_waitcnt vmcnt(0)
	v_add_f64 v[186:187], v[186:187], -v[4:5]
	s_clause 0x1
	buffer_load_dword v4, off, s[60:63], 0 offset:432
	buffer_load_dword v5, off, s[60:63], 0 offset:436
	v_add_f64 v[46:47], v[186:187], v[46:47]
	v_add_f64 v[46:47], v[184:185], v[46:47]
	v_add_f64 v[46:47], v[182:183], v[46:47]
	v_add_f64 v[46:47], v[180:181], v[46:47]
	;; [unrolled: 48-line block ×3, first 2 shown]
	s_waitcnt vmcnt(0)
	v_add_f64 v[140:141], v[4:5], v[140:141]
	s_clause 0x1
	buffer_load_dword v4, off, s[60:63], 0 offset:92
	buffer_load_dword v5, off, s[60:63], 0 offset:96
	s_waitcnt vmcnt(0)
	v_add_f64 v[104:105], v[4:5], v[104:105]
	s_clause 0x1
	buffer_load_dword v4, off, s[60:63], 0 offset:68
	buffer_load_dword v5, off, s[60:63], 0 offset:72
	;; [unrolled: 5-line block ×3, first 2 shown]
	v_add_f64 v[22:23], v[94:95], v[22:23]
	v_add_f64 v[22:23], v[104:105], v[22:23]
	;; [unrolled: 1-line block ×3, first 2 shown]
	s_waitcnt vmcnt(0)
	v_add_f64 v[126:127], v[126:127], -v[4:5]
	s_clause 0x1
	buffer_load_dword v4, off, s[60:63], 0 offset:60
	buffer_load_dword v5, off, s[60:63], 0 offset:64
	s_waitcnt vmcnt(0)
	v_add_f64 v[92:93], v[92:93], -v[4:5]
	s_clause 0x1
	buffer_load_dword v4, off, s[60:63], 0 offset:76
	buffer_load_dword v5, off, s[60:63], 0 offset:80
	v_add_f64 v[20:21], v[92:93], v[20:21]
	s_waitcnt vmcnt(0)
	v_add_f64 v[98:99], v[98:99], -v[4:5]
	s_clause 0x1
	buffer_load_dword v4, off, s[60:63], 0 offset:256
	buffer_load_dword v5, off, s[60:63], 0 offset:260
	v_add_f64 v[20:21], v[98:99], v[20:21]
	v_add_f64 v[20:21], v[126:127], v[20:21]
	s_waitcnt vmcnt(0)
	v_add_f64 v[162:163], v[4:5], v[162:163]
	s_clause 0x1
	buffer_load_dword v4, off, s[60:63], 0 offset:156
	buffer_load_dword v5, off, s[60:63], 0 offset:160
	v_add_f64 v[22:23], v[162:163], v[22:23]
	s_waitcnt vmcnt(0)
	v_add_f64 v[138:139], v[138:139], -v[4:5]
	s_clause 0x1
	buffer_load_dword v4, off, s[60:63], 0 offset:568
	buffer_load_dword v5, off, s[60:63], 0 offset:572
	v_add_f64 v[20:21], v[138:139], v[20:21]
	s_waitcnt vmcnt(0)
	v_add_f64 v[204:205], v[4:5], v[204:205]
	s_clause 0x1
	buffer_load_dword v4, off, s[60:63], 0 offset:560
	buffer_load_dword v5, off, s[60:63], 0 offset:564
	v_add_f64 v[40:41], v[204:205], v[40:41]
	s_waitcnt vmcnt(0)
	v_add_f64 v[206:207], v[206:207], -v[4:5]
	s_clause 0x1
	buffer_load_dword v4, off, s[60:63], 0 offset:464
	buffer_load_dword v5, off, s[60:63], 0 offset:468
	;; [unrolled: 12-line block ×6, first 2 shown]
	v_add_f64 v[68:69], v[218:219], v[42:43]
	v_add_f64 v[24:25], v[64:65], v[68:69]
	s_waitcnt vmcnt(0)
	v_add_f64 v[220:221], v[4:5], v[220:221]
	s_clause 0x1
	buffer_load_dword v4, off, s[60:63], 0 offset:440
	buffer_load_dword v5, off, s[60:63], 0 offset:444
	v_add_f64 v[40:41], v[220:221], v[44:45]
	s_waitcnt vmcnt(0)
	v_add_f64 v[222:223], v[222:223], -v[4:5]
	s_clause 0x1
	buffer_load_dword v4, off, s[60:63], 0 offset:352
	buffer_load_dword v5, off, s[60:63], 0 offset:356
	v_add_f64 v[46:47], v[222:223], v[46:47]
	s_waitcnt vmcnt(0)
	v_add_f64 v[224:225], v[4:5], v[224:225]
	s_clause 0x1
	buffer_load_dword v4, off, s[60:63], 0 offset:320
	buffer_load_dword v5, off, s[60:63], 0 offset:324
	v_add_f64 v[44:45], v[224:225], v[48:49]
	v_add_f64 v[34:35], v[54:55], v[44:45]
	s_waitcnt vmcnt(0)
	v_add_f64 v[226:227], v[226:227], -v[4:5]
	s_clause 0x1
	buffer_load_dword v4, off, s[60:63], 0 offset:288
	buffer_load_dword v5, off, s[60:63], 0 offset:292
	v_add_f64 v[50:51], v[226:227], v[50:51]
	s_waitcnt vmcnt(0)
	v_add_f64 v[170:171], v[4:5], v[170:171]
	s_clause 0x1
	buffer_load_dword v4, off, s[60:63], 0 offset:236
	buffer_load_dword v5, off, s[60:63], 0 offset:240
	v_add_f64 v[48:49], v[170:171], v[22:23]
	v_add_f64 v[22:23], v[84:85], v[30:31]
	;; [unrolled: 1-line block ×3, first 2 shown]
	s_waitcnt vmcnt(0)
	v_add_f64 v[158:159], v[158:159], -v[4:5]
	s_clause 0x1
	buffer_load_dword v4, off, s[60:63], 0 offset:528
	buffer_load_dword v5, off, s[60:63], 0 offset:532
	v_add_f64 v[20:21], v[158:159], v[20:21]
	s_waitcnt vmcnt(0)
	v_add_f64 v[228:229], v[4:5], v[228:229]
	s_clause 0x1
	buffer_load_dword v4, off, s[60:63], 0 offset:376
	buffer_load_dword v5, off, s[60:63], 0 offset:380
	v_add_f64 v[26:27], v[228:229], v[32:33]
	s_waitcnt vmcnt(0)
	v_add_f64 v[60:61], v[60:61], -v[4:5]
	s_clause 0x1
	buffer_load_dword v4, off, s[60:63], 0 offset:304
	buffer_load_dword v5, off, s[60:63], 0 offset:308
	v_add_f64 v[28:29], v[60:61], v[46:47]
	s_waitcnt vmcnt(0)
	v_add_f64 v[52:53], v[52:53], -v[4:5]
	s_clause 0x1
	buffer_load_dword v4, off, s[60:63], 0 offset:204
	buffer_load_dword v5, off, s[60:63], 0 offset:208
	v_add_f64 v[32:33], v[52:53], v[50:51]
	s_waitcnt vmcnt(0)
	v_add_f64 v[70:71], v[4:5], v[70:71]
	s_clause 0x1
	buffer_load_dword v4, off, s[60:63], 0 offset:188
	buffer_load_dword v5, off, s[60:63], 0 offset:192
	v_add_f64 v[42:43], v[70:71], v[48:49]
	s_waitcnt vmcnt(0)
	v_add_f64 v[72:73], v[72:73], -v[4:5]
	v_mov_b32_e32 v4, 4
	v_lshlrev_b32_sdwa v0, v4, v0 dst_sel:DWORD dst_unused:UNUSED_PAD src0_sel:DWORD src1_sel:WORD_0
	ds_write_b128 v0, v[36:39] offset:112
	ds_write_b128 v0, v[116:119] offset:128
	ds_write_b128 v0, v[120:123] offset:144
	ds_write_b128 v0, v[112:115] offset:160
	ds_write_b128 v0, v[76:79] offset:176
	ds_write_b128 v0, v[108:111] offset:192
	ds_write_b128 v0, v[56:59] offset:208
	s_clause 0x3
	buffer_load_dword v1, off, s[60:63], 0 offset:44
	buffer_load_dword v2, off, s[60:63], 0 offset:48
	;; [unrolled: 1-line block ×4, first 2 shown]
	v_add_f64 v[40:41], v[72:73], v[20:21]
	v_add_f64 v[20:21], v[106:107], v[74:75]
	s_waitcnt vmcnt(0)
	ds_write_b128 v0, v[1:4] offset:224
	s_clause 0x3
	buffer_load_dword v1, off, s[60:63], 0 offset:28
	buffer_load_dword v2, off, s[60:63], 0 offset:32
	;; [unrolled: 1-line block ×4, first 2 shown]
	s_waitcnt vmcnt(0)
	ds_write_b128 v0, v[1:4] offset:240
	ds_write_b128 v0, v[40:43] offset:16
	;; [unrolled: 1-line block ×7, first 2 shown]
	ds_write_b128 v0, v[12:15]
	s_clause 0x3
	buffer_load_dword v1, off, s[60:63], 0 offset:12
	buffer_load_dword v2, off, s[60:63], 0 offset:16
	;; [unrolled: 1-line block ×4, first 2 shown]
	s_waitcnt vmcnt(0)
	ds_write_b128 v0, v[1:4] offset:256
.LBB0_7:
	s_or_b32 exec_lo, exec_lo, s4
	s_waitcnt lgkmcnt(0)
	s_waitcnt_vscnt null, 0x0
	s_barrier
	buffer_gl0_inv
	ds_read_b128 v[40:43], v255
	ds_read_b128 v[64:67], v255 offset:3536
	ds_read_b128 v[60:63], v255 offset:7072
	;; [unrolled: 1-line block ×6, first 2 shown]
	v_cmp_gt_u16_e64 s0, 0x66, v6
	s_and_saveexec_b32 s1, s0
	s_cbranch_execz .LBB0_9
; %bb.8:
	ds_read_b128 v[36:39], v255 offset:1904
	ds_read_b128 v[116:119], v255 offset:5440
	;; [unrolled: 1-line block ×7, first 2 shown]
.LBB0_9:
	s_or_b32 exec_lo, exec_lo, s1
	v_and_b32_e32 v0, 0xff, v6
	v_add_nc_u16 v1, v6, 0x77
	s_mov_b32 s4, 0x37e14327
	s_mov_b32 s10, 0x36b3c0b5
	;; [unrolled: 1-line block ×3, first 2 shown]
	v_mul_lo_u16 v0, 0xf1, v0
	s_mov_b32 s8, 0x429ad128
	s_mov_b32 s24, 0xb247c609
	;; [unrolled: 1-line block ×4, first 2 shown]
	v_lshrrev_b16 v4, 12, v0
	v_and_b32_e32 v0, 0xff, v1
	s_mov_b32 s17, 0xbfe11646
	s_mov_b32 s9, 0x3febfeb5
	;; [unrolled: 1-line block ×3, first 2 shown]
	v_mul_lo_u16 v2, v4, 17
	v_mul_lo_u16 v0, 0xf1, v0
	s_mov_b32 s22, 0xaaaaaaaa
	s_mov_b32 s18, 0x5476071b
	;; [unrolled: 1-line block ×3, first 2 shown]
	v_sub_nc_u16 v2, v6, v2
	v_lshrrev_b16 v0, 12, v0
	s_mov_b32 s19, 0x3fe77f67
	s_mov_b32 s21, 0xbfe77f67
	;; [unrolled: 1-line block ×3, first 2 shown]
	v_and_b32_e32 v5, 0xff, v2
	buffer_store_dword v0, off, s[60:63], 0 offset:60 ; 4-byte Folded Spill
	v_mul_lo_u16 v0, v0, 17
	s_mov_b32 s20, s18
	s_mov_b32 s26, s24
	v_mul_u32_u24_e32 v2, 6, v5
	v_sub_nc_u16 v0, v1, v0
	v_lshlrev_b32_e32 v1, 4, v2
	s_clause 0x1
	global_load_dwordx4 v[104:107], v1, s[2:3]
	global_load_dwordx4 v[96:99], v1, s[2:3] offset:16
	v_and_b32_e32 v0, 0xff, v0
	buffer_store_dword v0, off, s[60:63], 0 offset:68 ; 4-byte Folded Spill
	v_mul_u32_u24_e32 v0, 6, v0
	s_clause 0x2
	global_load_dwordx4 v[88:91], v1, s[2:3] offset:32
	global_load_dwordx4 v[150:153], v1, s[2:3] offset:80
	global_load_dwordx4 v[100:103], v1, s[2:3] offset:64
	v_lshlrev_b32_e32 v0, 4, v0
	s_clause 0x6
	global_load_dwordx4 v[92:95], v1, s[2:3] offset:48
	global_load_dwordx4 v[84:87], v0, s[2:3]
	global_load_dwordx4 v[7:10], v0, s[2:3] offset:16
	global_load_dwordx4 v[134:137], v0, s[2:3] offset:80
	global_load_dwordx4 v[146:149], v0, s[2:3] offset:64
	global_load_dwordx4 v[142:145], v0, s[2:3] offset:32
	global_load_dwordx4 v[138:141], v0, s[2:3] offset:48
	s_waitcnt vmcnt(11) lgkmcnt(5)
	v_mul_f64 v[0:1], v[66:67], v[106:107]
	s_waitcnt vmcnt(10) lgkmcnt(4)
	v_mul_f64 v[12:13], v[62:63], v[98:99]
	v_mul_f64 v[14:15], v[60:61], v[98:99]
	;; [unrolled: 1-line block ×3, first 2 shown]
	s_waitcnt vmcnt(9) lgkmcnt(3)
	v_mul_f64 v[16:17], v[50:51], v[90:91]
	s_waitcnt vmcnt(8) lgkmcnt(0)
	v_mul_f64 v[18:19], v[70:71], v[152:153]
	s_waitcnt vmcnt(7)
	v_mul_f64 v[22:23], v[54:55], v[102:103]
	v_mul_f64 v[24:25], v[52:53], v[102:103]
	;; [unrolled: 1-line block ×3, first 2 shown]
	s_waitcnt vmcnt(5)
	v_mul_f64 v[32:33], v[118:119], v[86:87]
	s_waitcnt vmcnt(4)
	v_mul_f64 v[72:73], v[122:123], v[9:10]
	s_waitcnt vmcnt(3)
	v_mul_f64 v[80:81], v[58:59], v[136:137]
	s_waitcnt vmcnt(2)
	v_mul_f64 v[124:125], v[110:111], v[148:149]
	v_mul_f64 v[26:27], v[48:49], v[90:91]
	v_mul_f64 v[34:35], v[116:117], v[86:87]
	;; [unrolled: 1-line block ×5, first 2 shown]
	s_waitcnt vmcnt(1)
	v_mul_f64 v[128:129], v[114:115], v[144:145]
	s_waitcnt vmcnt(0)
	v_mul_f64 v[132:133], v[78:79], v[140:141]
	v_fma_f64 v[12:13], v[60:61], v[96:97], -v[12:13]
	v_fma_f64 v[60:61], v[62:63], v[96:97], v[14:15]
	v_mul_f64 v[130:131], v[112:113], v[144:145]
	v_mul_f64 v[28:29], v[46:47], v[94:95]
	;; [unrolled: 1-line block ×3, first 2 shown]
	v_fma_f64 v[0:1], v[64:65], v[104:105], -v[0:1]
	v_fma_f64 v[2:3], v[66:67], v[104:105], v[2:3]
	v_fma_f64 v[62:63], v[68:69], v[150:151], -v[18:19]
	buffer_store_dword v150, off, s[60:63], 0 offset:236 ; 4-byte Folded Spill
	buffer_store_dword v151, off, s[60:63], 0 offset:240 ; 4-byte Folded Spill
	;; [unrolled: 1-line block ×4, first 2 shown]
	v_fma_f64 v[14:15], v[52:53], v[100:101], -v[22:23]
	v_fma_f64 v[22:23], v[54:55], v[100:101], v[24:25]
	v_fma_f64 v[24:25], v[48:49], v[88:89], -v[16:17]
	v_fma_f64 v[32:33], v[116:117], v[84:85], -v[32:33]
	buffer_store_dword v84, off, s[60:63], 0 offset:272 ; 4-byte Folded Spill
	buffer_store_dword v85, off, s[60:63], 0 offset:276 ; 4-byte Folded Spill
	buffer_store_dword v86, off, s[60:63], 0 offset:280 ; 4-byte Folded Spill
	buffer_store_dword v87, off, s[60:63], 0 offset:284 ; 4-byte Folded Spill
	v_fma_f64 v[48:49], v[120:121], v[7:8], -v[72:73]
	buffer_store_dword v7, off, s[60:63], 0 offset:256 ; 4-byte Folded Spill
	buffer_store_dword v8, off, s[60:63], 0 offset:260 ; 4-byte Folded Spill
	buffer_store_dword v9, off, s[60:63], 0 offset:264 ; 4-byte Folded Spill
	buffer_store_dword v10, off, s[60:63], 0 offset:268 ; 4-byte Folded Spill
	;; [unrolled: 5-line block ×4, first 2 shown]
	v_mul_f64 v[18:19], v[76:77], v[140:141]
	v_fma_f64 v[68:69], v[112:113], v[142:143], -v[128:129]
	buffer_store_dword v142, off, s[60:63], 0 offset:320 ; 4-byte Folded Spill
	buffer_store_dword v143, off, s[60:63], 0 offset:324 ; 4-byte Folded Spill
	;; [unrolled: 1-line block ×4, first 2 shown]
	v_fma_f64 v[72:73], v[76:77], v[138:139], -v[132:133]
	buffer_store_dword v138, off, s[60:63], 0 offset:304 ; 4-byte Folded Spill
	buffer_store_dword v139, off, s[60:63], 0 offset:308 ; 4-byte Folded Spill
	;; [unrolled: 1-line block ×4, first 2 shown]
	v_fma_f64 v[26:27], v[50:51], v[88:89], v[26:27]
	v_fma_f64 v[28:29], v[44:45], v[92:93], -v[28:29]
	v_fma_f64 v[30:31], v[46:47], v[92:93], v[30:31]
	v_add_f64 v[44:45], v[0:1], v[62:63]
	v_add_f64 v[0:1], v[0:1], -v[62:63]
	v_add_f64 v[64:65], v[12:13], v[14:15]
	v_add_f64 v[66:67], v[60:61], v[22:23]
	v_add_f64 v[76:77], v[12:13], -v[14:15]
	v_add_f64 v[60:61], v[60:61], -v[22:23]
	v_add_f64 v[12:13], v[32:33], v[52:53]
	v_add_f64 v[14:15], v[48:49], v[56:57]
	;; [unrolled: 1-line block ×3, first 2 shown]
	v_add_f64 v[30:31], v[30:31], -v[26:27]
	v_add_f64 v[26:27], v[48:49], -v[56:57]
	;; [unrolled: 1-line block ×3, first 2 shown]
	v_add_f64 v[62:63], v[14:15], v[12:13]
	v_fma_f64 v[20:21], v[70:71], v[150:151], v[20:21]
	v_fma_f64 v[34:35], v[118:119], v[84:85], v[34:35]
	;; [unrolled: 1-line block ×7, first 2 shown]
	v_add_f64 v[78:79], v[24:25], v[28:29]
	v_add_f64 v[28:29], v[28:29], -v[24:25]
	v_add_f64 v[24:25], v[32:33], -v[52:53]
	v_add_f64 v[32:33], v[64:65], v[44:45]
	v_add_f64 v[46:47], v[2:3], v[20:21]
	v_add_f64 v[2:3], v[2:3], -v[20:21]
	v_add_f64 v[16:17], v[34:35], v[54:55]
	v_add_f64 v[20:21], v[34:35], -v[54:55]
	;; [unrolled: 2-line block ×4, first 2 shown]
	v_add_f64 v[72:73], v[30:31], -v[60:61]
	v_add_f64 v[48:49], v[70:71], v[74:75]
	v_add_f64 v[54:55], v[74:75], -v[70:71]
	v_add_f64 v[44:45], v[44:45], -v[78:79]
	;; [unrolled: 1-line block ×5, first 2 shown]
	v_add_f64 v[52:53], v[66:67], v[46:47]
	v_add_f64 v[58:59], v[66:67], -v[46:47]
	v_add_f64 v[46:47], v[46:47], -v[80:81]
	v_add_f64 v[82:83], v[28:29], v[76:77]
	v_add_f64 v[108:109], v[60:61], -v[2:3]
	v_add_f64 v[78:79], v[78:79], v[32:33]
	v_add_f64 v[32:33], v[30:31], v[60:61]
	v_add_f64 v[110:111], v[2:3], -v[30:31]
	v_add_f64 v[76:77], v[76:77], -v[0:1]
	v_add_f64 v[68:69], v[18:19], v[16:17]
	v_add_f64 v[60:61], v[12:13], -v[34:35]
	v_add_f64 v[114:115], v[24:25], -v[50:51]
	;; [unrolled: 3-line block ×3, first 2 shown]
	v_add_f64 v[116:117], v[20:21], -v[54:55]
	v_add_f64 v[62:63], v[50:51], v[26:27]
	v_mul_f64 v[44:45], v[44:45], s[4:5]
	v_mul_f64 v[122:123], v[64:65], s[16:17]
	v_add_f64 v[52:53], v[80:81], v[52:53]
	v_add_f64 v[80:81], v[0:1], -v[28:29]
	v_add_f64 v[28:29], v[34:35], -v[14:15]
	v_mul_f64 v[120:121], v[46:47], s[4:5]
	v_mul_f64 v[72:73], v[72:73], s[16:17]
	v_add_f64 v[124:125], v[54:55], v[22:23]
	v_add_f64 v[50:51], v[50:51], -v[26:27]
	v_mul_f64 v[128:129], v[108:109], s[8:9]
	v_add_f64 v[65:66], v[40:41], v[78:79]
	v_add_f64 v[40:41], v[54:55], -v[22:23]
	v_add_f64 v[0:1], v[82:83], v[0:1]
	v_add_f64 v[48:49], v[48:49], v[68:69]
	v_mul_f64 v[54:55], v[70:71], s[10:11]
	v_mul_f64 v[82:83], v[74:75], s[10:11]
	v_add_f64 v[2:3], v[32:33], v[2:3]
	v_mul_f64 v[32:33], v[60:61], s[4:5]
	v_mul_f64 v[46:47], v[114:115], s[24:25]
	;; [unrolled: 3-line block ×3, first 2 shown]
	v_add_f64 v[60:61], v[62:63], v[24:25]
	v_fma_f64 v[69:70], v[70:71], s[10:11], v[44:45]
	v_add_f64 v[67:68], v[42:43], v[52:53]
	v_mul_f64 v[42:43], v[112:113], s[4:5]
	v_fma_f64 v[112:113], v[80:81], s[24:25], v[122:123]
	v_fma_f64 v[74:75], v[74:75], s[10:11], v[120:121]
	;; [unrolled: 1-line block ×3, first 2 shown]
	v_fma_f64 v[76:77], v[76:77], s[8:9], -v[122:123]
	v_fma_f64 v[71:72], v[108:109], s[8:9], -v[72:73]
	v_fma_f64 v[108:109], v[110:111], s[26:27], -v[128:129]
	v_fma_f64 v[78:79], v[78:79], s[22:23], v[65:66]
	v_fma_f64 v[44:45], v[56:57], s[20:21], -v[44:45]
	v_fma_f64 v[116:117], v[58:59], s[20:21], -v[120:121]
	v_add_f64 v[38:39], v[38:39], v[48:49]
	v_fma_f64 v[54:55], v[56:57], s[18:19], -v[54:55]
	v_fma_f64 v[56:57], v[58:59], s[18:19], -v[82:83]
	v_add_f64 v[62:63], v[124:125], v[20:21]
	v_fma_f64 v[82:83], v[28:29], s[10:11], v[32:33]
	v_fma_f64 v[122:123], v[50:51], s[16:17], v[46:47]
	s_load_dwordx4 s[4:7], s[6:7], 0x0
	v_fma_f64 v[124:125], v[40:41], s[16:17], v[34:35]
	v_fma_f64 v[80:81], v[80:81], s[26:27], -v[126:127]
	v_mov_b32_e32 v64, 0x77
	s_waitcnt lgkmcnt(0)
	s_waitcnt_vscnt null, 0x0
	v_fma_f64 v[110:111], v[52:53], s[22:23], v[67:68]
	v_fma_f64 v[120:121], v[30:31], s[10:11], v[42:43]
	;; [unrolled: 1-line block ×3, first 2 shown]
	s_barrier
	buffer_gl0_inv
	v_add_f64 v[118:119], v[44:45], v[78:79]
	v_fma_f64 v[58:59], v[48:49], s[22:23], v[38:39]
	s_mov_b32 s22, 0x37c3f68c
	s_mov_b32 s23, 0x3fdc38aa
	v_fma_f64 v[126:127], v[0:1], s[22:23], v[112:113]
	v_fma_f64 v[128:129], v[2:3], s[22:23], v[114:115]
	v_fma_f64 v[114:115], v[0:1], s[22:23], v[76:77]
	v_fma_f64 v[112:113], v[2:3], s[22:23], v[71:72]
	v_fma_f64 v[2:3], v[2:3], s[22:23], v[108:109]
	v_add_f64 v[108:109], v[69:70], v[78:79]
	v_fma_f64 v[44:45], v[62:63], s[22:23], v[124:125]
	v_add_f64 v[130:131], v[74:75], v[110:111]
	v_add_f64 v[132:133], v[116:117], v[110:111]
	;; [unrolled: 1-line block ×4, first 2 shown]
	v_fma_f64 v[54:55], v[60:61], s[22:23], v[122:123]
	v_add_f64 v[48:49], v[82:83], v[52:53]
	v_fma_f64 v[0:1], v[0:1], s[22:23], v[80:81]
	v_add_f64 v[56:57], v[120:121], v[58:59]
	v_add_f64 v[73:74], v[2:3], v[118:119]
	;; [unrolled: 1-line block ×3, first 2 shown]
	v_add_f64 v[120:121], v[108:109], -v[128:129]
	v_add_f64 v[71:72], v[130:131], -v[126:127]
	v_add_f64 v[122:123], v[126:127], v[130:131]
	v_add_f64 v[77:78], v[116:117], -v[112:113]
	v_add_f64 v[79:80], v[114:115], v[110:111]
	v_add_f64 v[114:115], v[110:111], -v[114:115]
	v_add_f64 v[108:109], v[48:49], -v[44:45]
	v_add_f64 v[75:76], v[132:133], -v[0:1]
	v_add_f64 v[112:113], v[112:113], v[116:117]
	v_add_f64 v[116:117], v[118:119], -v[2:3]
	v_add_f64 v[118:119], v[0:1], v[132:133]
	v_mul_u32_u24_sdwa v0, v4, v64 dst_sel:DWORD dst_unused:UNUSED_PAD src0_sel:WORD_0 src1_sel:DWORD
	v_add_f64 v[110:111], v[54:55], v[56:57]
	v_add_lshl_u32 v192, v0, v5, 4
	ds_write_b128 v192, v[65:68]
	ds_write_b128 v192, v[69:72] offset:272
	ds_write_b128 v192, v[73:76] offset:544
	ds_write_b128 v192, v[77:80] offset:816
	ds_write_b128 v192, v[112:115] offset:1088
	ds_write_b128 v192, v[116:119] offset:1360
	ds_write_b128 v192, v[120:123] offset:1632
	s_and_saveexec_b32 s1, s0
	s_cbranch_execz .LBB0_11
; %bb.10:
	v_add_f64 v[0:1], v[26:27], -v[24:25]
	v_add_f64 v[2:3], v[18:19], -v[16:17]
	v_mul_f64 v[16:17], v[30:31], s[10:11]
	v_mul_f64 v[18:19], v[50:51], s[16:17]
	v_add_f64 v[12:13], v[14:15], -v[12:13]
	v_add_f64 v[14:15], v[22:23], -v[20:21]
	v_mul_f64 v[20:21], v[28:29], s[10:11]
	s_mov_b32 s11, 0xbfebfeb5
	s_mov_b32 s10, s8
	v_mul_f64 v[22:23], v[40:41], s[16:17]
	v_mul_f64 v[24:25], v[60:61], s[22:23]
	;; [unrolled: 1-line block ×3, first 2 shown]
	v_fma_f64 v[28:29], v[0:1], s[10:11], -v[46:47]
	v_fma_f64 v[30:31], v[2:3], s[20:21], -v[42:43]
	;; [unrolled: 1-line block ×8, first 2 shown]
	v_add_f64 v[20:21], v[24:25], v[28:29]
	v_add_f64 v[28:29], v[30:31], v[58:59]
	;; [unrolled: 1-line block ×9, first 2 shown]
	v_add_f64 v[14:15], v[56:57], -v[54:55]
	v_add_f64 v[18:19], v[20:21], v[28:29]
	v_add_f64 v[30:31], v[28:29], -v[20:21]
	v_add_f64 v[22:23], v[2:3], -v[0:1]
	v_add_f64 v[26:27], v[0:1], v[2:3]
	s_clause 0x1
	buffer_load_dword v0, off, s[60:63], 0 offset:60
	buffer_load_dword v1, off, s[60:63], 0 offset:68
	v_add_f64 v[28:29], v[32:33], v[16:17]
	v_add_f64 v[16:17], v[16:17], -v[32:33]
	v_add_f64 v[24:25], v[34:35], -v[40:41]
	v_add_f64 v[20:21], v[40:41], v[34:35]
	s_waitcnt vmcnt(1)
	v_mul_u32_u24_sdwa v0, v0, v64 dst_sel:DWORD dst_unused:UNUSED_PAD src0_sel:WORD_0 src1_sel:DWORD
	s_waitcnt vmcnt(0)
	v_add_lshl_u32 v0, v0, v1, 4
	ds_write_b128 v0, v[36:39]
	ds_write_b128 v0, v[12:15] offset:272
	ds_write_b128 v0, v[28:31] offset:544
	;; [unrolled: 1-line block ×6, first 2 shown]
.LBB0_11:
	s_or_b32 exec_lo, exec_lo, s1
	v_mad_u64_u32 v[0:1], null, 0xc0, v6, s[2:3]
	s_waitcnt lgkmcnt(0)
	s_barrier
	buffer_gl0_inv
	s_mov_b32 s28, 0x42a4c3d2
	s_mov_b32 s30, 0x66966769
	;; [unrolled: 1-line block ×3, first 2 shown]
	s_clause 0xb
	global_load_dwordx4 v[64:67], v[0:1], off offset:1632
	global_load_dwordx4 v[4:7], v[0:1], off offset:1808
	;; [unrolled: 1-line block ×12, first 2 shown]
	ds_read_b128 v[112:115], v255 offset:1904
	ds_read_b128 v[124:127], v255 offset:22848
	;; [unrolled: 1-line block ×4, first 2 shown]
	ds_read_b128 v[136:139], v255
	ds_read_b128 v[16:19], v255 offset:20944
	ds_read_b128 v[20:23], v255 offset:19040
	;; [unrolled: 1-line block ×8, first 2 shown]
	s_mov_b32 s26, 0x24c2f84
	s_mov_b32 s34, 0x4bc48dbf
	s_mov_b32 s23, 0xbfddbe06
	s_mov_b32 s22, 0x4267c47c
	s_mov_b32 s29, 0xbfea55e2
	s_mov_b32 s31, 0xbfefc445
	s_mov_b32 s25, 0xbfedeba7
	s_mov_b32 s27, 0xbfe5384d
	s_mov_b32 s35, 0xbfcea1e5
	s_mov_b32 s2, 0xe00740e9
	s_mov_b32 s8, 0x1ea71119
	s_mov_b32 s18, 0xebaa3ed8
	s_mov_b32 s16, 0xb2365da1
	s_mov_b32 s10, 0xd0032e0c
	s_mov_b32 s20, 0x93053d00
	s_mov_b32 s3, 0x3fec55a7
	s_mov_b32 s9, 0x3fe22d96
	s_mov_b32 s19, 0x3fbedb7d
	s_mov_b32 s17, 0xbfd6b1d8
	s_mov_b32 s11, 0xbfe7f3cc
	s_mov_b32 s21, 0xbfef11f4
	s_mov_b32 s39, 0x3fe5384d
	s_mov_b32 s38, s26
	s_mov_b32 s37, 0x3fefc445
	s_mov_b32 s36, s30
	s_mov_b32 s41, 0x3fedeba7
	s_mov_b32 s40, s24
	s_waitcnt vmcnt(11) lgkmcnt(12)
	v_mul_f64 v[14:15], v[114:115], v[66:67]
	s_waitcnt vmcnt(10) lgkmcnt(11)
	v_mul_f64 v[2:3], v[124:125], v[6:7]
	v_mul_f64 v[28:29], v[126:127], v[6:7]
	s_waitcnt vmcnt(9) lgkmcnt(10)
	v_mul_f64 v[30:31], v[122:123], v[74:75]
	;; [unrolled: 3-line block ×3, first 2 shown]
	v_mul_f64 v[0:1], v[112:113], v[66:67]
	v_mul_f64 v[148:149], v[116:117], v[38:39]
	s_waitcnt vmcnt(7) lgkmcnt(7)
	v_mul_f64 v[150:151], v[18:19], v[42:43]
	v_mul_f64 v[152:153], v[16:17], v[42:43]
	s_waitcnt vmcnt(4) lgkmcnt(4)
	v_mul_f64 v[154:155], v[130:131], v[54:55]
	s_waitcnt vmcnt(2) lgkmcnt(3)
	v_mul_f64 v[156:157], v[134:135], v[62:63]
	v_mul_f64 v[158:159], v[132:133], v[62:63]
	v_fma_f64 v[112:113], v[112:113], v[64:65], -v[14:15]
	v_fma_f64 v[12:13], v[126:127], v[4:5], v[2:3]
	buffer_store_dword v4, off, s[60:63], 0 offset:76 ; 4-byte Folded Spill
	buffer_store_dword v5, off, s[60:63], 0 offset:80 ; 4-byte Folded Spill
	;; [unrolled: 1-line block ×4, first 2 shown]
	v_mul_f64 v[2:3], v[26:27], v[10:11]
	v_mul_f64 v[126:127], v[22:23], v[58:59]
	v_fma_f64 v[0:1], v[114:115], v[64:65], v[0:1]
	v_mul_f64 v[114:115], v[24:25], v[10:11]
	v_fma_f64 v[16:17], v[16:17], v[40:41], -v[150:151]
	v_fma_f64 v[156:157], v[132:133], v[60:61], -v[156:157]
	v_add_f64 v[172:173], v[0:1], v[12:13]
	v_fma_f64 v[14:15], v[124:125], v[4:5], -v[28:29]
	v_fma_f64 v[28:29], v[120:121], v[72:73], -v[30:31]
	v_fma_f64 v[30:31], v[122:123], v[72:73], v[32:33]
	v_fma_f64 v[32:33], v[116:117], v[36:37], -v[34:35]
	buffer_store_dword v36, off, s[60:63], 0 offset:108 ; 4-byte Folded Spill
	buffer_store_dword v37, off, s[60:63], 0 offset:112 ; 4-byte Folded Spill
	;; [unrolled: 1-line block ×8, first 2 shown]
	v_mul_f64 v[124:125], v[20:21], v[58:59]
	s_waitcnt lgkmcnt(1)
	v_mul_f64 v[122:123], v[146:147], v[70:71]
	v_fma_f64 v[20:21], v[20:21], v[56:57], -v[126:127]
	v_mul_f64 v[120:121], v[128:129], v[54:55]
	v_mul_f64 v[116:117], v[144:145], v[70:71]
	s_waitcnt vmcnt(0) lgkmcnt(0)
	v_mul_f64 v[126:127], v[164:165], v[46:47]
	v_add_f64 v[201:202], v[32:33], v[20:21]
	v_add_f64 v[203:204], v[32:33], -v[20:21]
	v_mul_f64 v[207:208], v[203:204], s[30:31]
	v_mul_f64 v[42:43], v[203:204], s[28:29]
	v_fma_f64 v[34:35], v[118:119], v[36:37], v[148:149]
	v_fma_f64 v[148:149], v[24:25], v[8:9], -v[2:3]
	buffer_store_dword v8, off, s[60:63], 0 offset:92 ; 4-byte Folded Spill
	buffer_store_dword v9, off, s[60:63], 0 offset:96 ; 4-byte Folded Spill
	;; [unrolled: 1-line block ×8, first 2 shown]
	v_fma_f64 v[18:19], v[18:19], v[40:41], v[152:153]
	v_fma_f64 v[152:153], v[128:129], v[52:53], -v[154:155]
	buffer_store_dword v52, off, s[60:63], 0 offset:172 ; 4-byte Folded Spill
	buffer_store_dword v53, off, s[60:63], 0 offset:176 ; 4-byte Folded Spill
	;; [unrolled: 1-line block ×4, first 2 shown]
	v_fma_f64 v[24:25], v[144:145], v[68:69], -v[122:123]
	buffer_store_dword v68, off, s[60:63], 0 offset:220 ; 4-byte Folded Spill
	buffer_store_dword v69, off, s[60:63], 0 offset:224 ; 4-byte Folded Spill
	buffer_store_dword v70, off, s[60:63], 0 offset:228 ; 4-byte Folded Spill
	buffer_store_dword v71, off, s[60:63], 0 offset:232 ; 4-byte Folded Spill
	v_mul_f64 v[2:3], v[142:143], v[50:51]
	buffer_store_dword v60, off, s[60:63], 0 offset:204 ; 4-byte Folded Spill
	buffer_store_dword v61, off, s[60:63], 0 offset:208 ; 4-byte Folded Spill
	;; [unrolled: 1-line block ×4, first 2 shown]
	v_add_f64 v[118:119], v[0:1], -v[12:13]
	v_add_f64 v[58:59], v[138:139], v[0:1]
	v_add_f64 v[211:212], v[148:149], v[24:25]
	v_add_f64 v[215:216], v[148:149], -v[24:25]
	v_fma_f64 v[160:161], v[140:141], v[48:49], -v[2:3]
	v_mul_f64 v[122:123], v[118:119], s[22:23]
	v_mul_f64 v[128:129], v[118:119], s[28:29]
	;; [unrolled: 1-line block ×5, first 2 shown]
	v_add_f64 v[235:236], v[156:157], v[160:161]
	v_fma_f64 v[150:151], v[26:27], v[8:9], v[114:115]
	v_fma_f64 v[22:23], v[22:23], v[56:57], v[124:125]
	v_mul_f64 v[124:125], v[166:167], v[46:47]
	v_mul_f64 v[114:115], v[140:141], v[50:51]
	buffer_store_dword v48, off, s[60:63], 0 offset:156 ; 4-byte Folded Spill
	buffer_store_dword v49, off, s[60:63], 0 offset:160 ; 4-byte Folded Spill
	;; [unrolled: 1-line block ×4, first 2 shown]
	v_fma_f64 v[154:155], v[130:131], v[52:53], v[120:121]
	v_fma_f64 v[26:27], v[146:147], v[68:69], v[116:117]
	v_add_f64 v[120:121], v[112:113], v[14:15]
	v_fma_f64 v[158:159], v[134:135], v[60:61], v[158:159]
	v_mul_f64 v[130:131], v[118:119], s[30:31]
	v_mul_f64 v[134:135], v[118:119], s[26:27]
	v_add_f64 v[56:57], v[136:137], v[112:113]
	v_add_f64 v[205:206], v[34:35], v[22:23]
	v_fma_f64 v[116:117], v[164:165], v[44:45], -v[124:125]
	buffer_store_dword v44, off, s[60:63], 0 offset:140 ; 4-byte Folded Spill
	buffer_store_dword v45, off, s[60:63], 0 offset:144 ; 4-byte Folded Spill
	buffer_store_dword v46, off, s[60:63], 0 offset:148 ; 4-byte Folded Spill
	buffer_store_dword v47, off, s[60:63], 0 offset:152 ; 4-byte Folded Spill
	v_add_f64 v[209:210], v[150:151], -v[26:27]
	v_fma_f64 v[2:3], v[120:121], s[2:3], -v[122:123]
	v_fma_f64 v[124:125], v[120:121], s[8:9], v[128:129]
	v_add_f64 v[217:218], v[150:151], v[26:27]
	v_fma_f64 v[140:141], v[120:121], s[10:11], -v[134:135]
	v_fma_f64 v[134:135], v[120:121], s[10:11], v[134:135]
	v_add_f64 v[223:224], v[152:153], v[116:117]
	v_add_f64 v[227:228], v[152:153], -v[116:117]
	v_mul_f64 v[213:214], v[209:210], s[24:25]
	v_add_f64 v[0:1], v[136:137], v[2:3]
	v_add_f64 v[62:63], v[136:137], v[124:125]
	;; [unrolled: 1-line block ×3, first 2 shown]
	v_mul_f64 v[231:232], v[227:228], s[26:27]
	v_mul_f64 v[6:7], v[227:228], s[28:29]
	v_fma_f64 v[162:163], v[142:143], v[48:49], v[114:115]
	v_fma_f64 v[114:115], v[120:121], s[2:3], v[122:123]
	v_fma_f64 v[122:123], v[120:121], s[8:9], -v[128:129]
	v_fma_f64 v[128:129], v[120:121], s[18:19], v[130:131]
	v_fma_f64 v[142:143], v[120:121], s[20:21], -v[144:145]
	;; [unrolled: 2-line block ×3, first 2 shown]
	v_fma_f64 v[130:131], v[120:121], s[16:17], -v[132:133]
	v_fma_f64 v[132:133], v[120:121], s[16:17], v[132:133]
	v_fma_f64 v[120:121], v[120:121], s[20:21], v[144:145]
	v_add_f64 v[144:145], v[112:113], -v[14:15]
	v_add_f64 v[112:113], v[136:137], v[114:115]
	v_add_f64 v[68:69], v[136:137], v[128:129]
	;; [unrolled: 1-line block ×3, first 2 shown]
	v_add_f64 v[233:234], v[158:159], -v[162:163]
	v_add_f64 v[239:240], v[158:159], v[162:163]
	v_add_f64 v[221:222], v[154:155], -v[118:119]
	v_add_f64 v[197:198], v[136:137], v[126:127]
	v_add_f64 v[130:131], v[136:137], v[130:131]
	v_add_f64 v[76:77], v[136:137], v[132:133]
	v_add_f64 v[126:127], v[136:137], v[140:141]
	v_mul_f64 v[168:169], v[144:145], s[24:25]
	v_mul_f64 v[146:147], v[144:145], s[22:23]
	;; [unrolled: 1-line block ×6, first 2 shown]
	v_add_f64 v[142:143], v[136:137], v[120:121]
	v_add_f64 v[229:230], v[154:155], v[118:119]
	v_mul_f64 v[237:238], v[233:234], s[34:35]
	s_mov_b32 s23, 0x3fddbe06
	v_mul_f64 v[8:9], v[233:234], s[26:27]
	v_mul_f64 v[52:53], v[233:234], s[24:25]
	;; [unrolled: 1-line block ×4, first 2 shown]
	v_fma_f64 v[186:187], v[172:173], s[16:17], -v[168:169]
	v_fma_f64 v[174:175], v[172:173], s[2:3], v[146:147]
	v_fma_f64 v[146:147], v[172:173], s[2:3], -v[146:147]
	v_fma_f64 v[184:185], v[172:173], s[16:17], v[168:169]
	v_fma_f64 v[188:189], v[172:173], s[10:11], v[170:171]
	;; [unrolled: 1-line block ×3, first 2 shown]
	v_fma_f64 v[178:179], v[172:173], s[8:9], -v[164:165]
	v_fma_f64 v[180:181], v[172:173], s[18:19], v[166:167]
	v_fma_f64 v[182:183], v[172:173], s[18:19], -v[166:167]
	v_fma_f64 v[190:191], v[172:173], s[10:11], -v[170:171]
	v_fma_f64 v[193:194], v[172:173], s[20:21], v[144:145]
	v_fma_f64 v[144:145], v[172:173], s[20:21], -v[144:145]
	v_fma_f64 v[10:11], v[235:236], s[10:11], -v[8:9]
	;; [unrolled: 1-line block ×3, first 2 shown]
	v_fma_f64 v[8:9], v[235:236], s[10:11], v[8:9]
	v_fma_f64 v[50:51], v[223:224], s[2:3], -v[48:49]
	v_fma_f64 v[48:49], v[223:224], s[2:3], v[48:49]
	v_add_f64 v[78:79], v[138:139], v[186:187]
	v_add_f64 v[186:187], v[30:31], -v[18:19]
	v_add_f64 v[114:115], v[138:139], v[146:147]
	v_add_f64 v[146:147], v[136:137], v[122:123]
	v_add_f64 v[128:129], v[138:139], v[184:185]
	v_add_f64 v[124:125], v[138:139], v[188:189]
	v_add_f64 v[184:185], v[28:29], v[16:17]
	v_add_f64 v[188:189], v[28:29], -v[16:17]
	v_add_f64 v[2:3], v[138:139], v[174:175]
	v_add_f64 v[195:196], v[138:139], v[176:177]
	;; [unrolled: 1-line block ×9, first 2 shown]
	v_add_f64 v[193:194], v[34:35], -v[22:23]
	v_mul_f64 v[136:137], v[186:187], s[28:29]
	v_mul_f64 v[245:246], v[186:187], s[34:35]
	;; [unrolled: 1-line block ×4, first 2 shown]
	v_fma_f64 v[120:121], v[184:185], s[8:9], -v[136:137]
	v_add_f64 v[0:1], v[120:121], v[0:1]
	v_fma_f64 v[120:121], v[190:191], s[8:9], v[138:139]
	v_add_f64 v[2:3], v[120:121], v[2:3]
	v_fma_f64 v[120:121], v[201:202], s[18:19], -v[144:145]
	v_add_f64 v[0:1], v[120:121], v[0:1]
	v_fma_f64 v[120:121], v[205:206], s[18:19], v[207:208]
	v_add_f64 v[2:3], v[120:121], v[2:3]
	;; [unrolled: 4-line block ×4, first 2 shown]
	v_fma_f64 v[120:121], v[235:236], s[20:21], -v[237:238]
	v_add_f64 v[120:121], v[120:121], v[0:1]
	v_add_f64 v[0:1], v[156:157], -v[160:161]
	v_mul_f64 v[241:242], v[0:1], s[34:35]
	v_mul_f64 v[243:244], v[0:1], s[22:23]
	v_fma_f64 v[122:123], v[239:240], s[20:21], v[241:242]
	v_add_f64 v[122:123], v[122:123], v[2:3]
	v_fma_f64 v[2:3], v[184:185], s[8:9], v[136:137]
	v_fma_f64 v[136:137], v[239:240], s[20:21], -v[241:242]
	v_mul_f64 v[241:242], v[233:234], s[22:23]
	v_add_f64 v[2:3], v[2:3], v[112:113]
	v_fma_f64 v[112:113], v[190:191], s[8:9], -v[138:139]
	v_add_f64 v[112:113], v[112:113], v[114:115]
	v_fma_f64 v[114:115], v[201:202], s[18:19], v[144:145]
	v_add_f64 v[2:3], v[114:115], v[2:3]
	v_fma_f64 v[114:115], v[205:206], s[18:19], -v[207:208]
	v_mul_f64 v[207:208], v[188:189], s[24:25]
	v_add_f64 v[112:113], v[114:115], v[112:113]
	v_fma_f64 v[114:115], v[211:212], s[16:17], v[213:214]
	v_fma_f64 v[138:139], v[190:191], s[16:17], v[207:208]
	v_mul_f64 v[213:214], v[203:204], s[34:35]
	v_add_f64 v[2:3], v[114:115], v[2:3]
	v_fma_f64 v[114:115], v[217:218], s[16:17], -v[219:220]
	v_add_f64 v[138:139], v[138:139], v[195:196]
	v_mul_f64 v[195:196], v[193:194], s[34:35]
	v_mul_f64 v[219:220], v[209:210], s[38:39]
	v_add_f64 v[112:113], v[114:115], v[112:113]
	v_fma_f64 v[114:115], v[223:224], s[10:11], v[225:226]
	v_fma_f64 v[144:145], v[201:202], s[20:21], -v[195:196]
	v_mul_f64 v[225:226], v[215:216], s[38:39]
	v_add_f64 v[2:3], v[114:115], v[2:3]
	v_fma_f64 v[114:115], v[229:230], s[10:11], -v[231:232]
	v_mul_f64 v[231:232], v[221:222], s[36:37]
	v_add_f64 v[114:115], v[114:115], v[112:113]
	v_fma_f64 v[112:113], v[235:236], s[20:21], v[237:238]
	v_mul_f64 v[237:238], v[227:228], s[36:37]
	v_add_f64 v[114:115], v[136:137], v[114:115]
	v_add_f64 v[112:113], v[112:113], v[2:3]
	v_mul_f64 v[2:3], v[186:187], s[24:25]
	v_fma_f64 v[136:137], v[184:185], s[16:17], -v[2:3]
	v_fma_f64 v[2:3], v[184:185], s[16:17], v[2:3]
	v_add_f64 v[136:137], v[136:137], v[146:147]
	v_add_f64 v[2:3], v[2:3], v[62:63]
	;; [unrolled: 1-line block ×3, first 2 shown]
	v_fma_f64 v[144:145], v[205:206], s[20:21], v[213:214]
	v_add_f64 v[138:139], v[144:145], v[138:139]
	v_fma_f64 v[144:145], v[211:212], s[10:11], -v[219:220]
	v_add_f64 v[136:137], v[144:145], v[136:137]
	v_fma_f64 v[144:145], v[217:218], s[10:11], v[225:226]
	v_add_f64 v[138:139], v[144:145], v[138:139]
	v_fma_f64 v[144:145], v[223:224], s[18:19], -v[231:232]
	v_add_f64 v[136:137], v[144:145], v[136:137]
	;; [unrolled: 4-line block ×4, first 2 shown]
	v_mul_f64 v[197:198], v[188:189], s[34:35]
	s_mov_b32 s35, 0x3fcea1e5
	v_mul_f64 v[44:45], v[209:210], s[34:35]
	v_fma_f64 v[146:147], v[190:191], s[20:21], v[197:198]
	v_fma_f64 v[46:47], v[211:212], s[20:21], -v[44:45]
	v_fma_f64 v[44:45], v[211:212], s[20:21], v[44:45]
	v_add_f64 v[146:147], v[146:147], v[199:200]
	v_mul_f64 v[199:200], v[193:194], s[40:41]
	v_fma_f64 v[247:248], v[201:202], s[16:17], -v[199:200]
	v_add_f64 v[144:145], v[247:248], v[144:145]
	v_mul_f64 v[247:248], v[203:204], s[40:41]
	v_fma_f64 v[249:250], v[205:206], s[16:17], v[247:248]
	v_add_f64 v[146:147], v[249:250], v[146:147]
	v_mul_f64 v[249:250], v[209:210], s[22:23]
	v_fma_f64 v[251:252], v[211:212], s[2:3], -v[249:250]
	v_add_f64 v[144:145], v[251:252], v[144:145]
	v_mul_f64 v[251:252], v[215:216], s[22:23]
	v_fma_f64 v[253:254], v[217:218], s[2:3], v[251:252]
	v_add_f64 v[146:147], v[253:254], v[146:147]
	v_mul_f64 v[253:254], v[221:222], s[28:29]
	v_fma_f64 v[4:5], v[223:224], s[8:9], -v[253:254]
	v_add_f64 v[4:5], v[4:5], v[144:145]
	v_fma_f64 v[144:145], v[229:230], s[8:9], v[6:7]
	v_fma_f64 v[6:7], v[229:230], s[8:9], -v[6:7]
	v_add_f64 v[146:147], v[144:145], v[146:147]
	v_add_f64 v[144:145], v[10:11], v[4:5]
	v_mul_f64 v[4:5], v[0:1], s[26:27]
	v_fma_f64 v[10:11], v[239:240], s[10:11], v[4:5]
	v_fma_f64 v[4:5], v[239:240], s[10:11], -v[4:5]
	v_add_f64 v[146:147], v[10:11], v[146:147]
	v_mul_f64 v[10:11], v[186:187], s[38:39]
	v_fma_f64 v[164:165], v[184:185], s[10:11], -v[10:11]
	v_fma_f64 v[10:11], v[184:185], s[10:11], v[10:11]
	v_add_f64 v[130:131], v[164:165], v[130:131]
	v_mul_f64 v[164:165], v[188:189], s[38:39]
	v_add_f64 v[10:11], v[10:11], v[76:77]
	v_fma_f64 v[166:167], v[190:191], s[10:11], v[164:165]
	v_add_f64 v[128:129], v[166:167], v[128:129]
	v_mul_f64 v[166:167], v[193:194], s[22:23]
	v_fma_f64 v[168:169], v[201:202], s[2:3], -v[166:167]
	v_add_f64 v[130:131], v[168:169], v[130:131]
	v_mul_f64 v[168:169], v[203:204], s[22:23]
	v_fma_f64 v[170:171], v[205:206], s[2:3], v[168:169]
	v_add_f64 v[128:129], v[170:171], v[128:129]
	v_mul_f64 v[170:171], v[209:210], s[30:31]
	v_fma_f64 v[172:173], v[211:212], s[18:19], -v[170:171]
	v_add_f64 v[130:131], v[172:173], v[130:131]
	v_mul_f64 v[172:173], v[215:216], s[30:31]
	s_mov_b32 s31, 0x3fea55e2
	s_mov_b32 s30, s28
	v_mul_f64 v[36:37], v[233:234], s[30:31]
	v_mul_f64 v[233:234], v[233:234], s[36:37]
	v_fma_f64 v[174:175], v[217:218], s[18:19], v[172:173]
	v_fma_f64 v[38:39], v[235:236], s[8:9], -v[36:37]
	v_add_f64 v[128:129], v[174:175], v[128:129]
	v_mul_f64 v[174:175], v[221:222], s[34:35]
	v_fma_f64 v[176:177], v[223:224], s[20:21], -v[174:175]
	v_add_f64 v[130:131], v[176:177], v[130:131]
	v_mul_f64 v[176:177], v[227:228], s[34:35]
	v_fma_f64 v[178:179], v[229:230], s[20:21], v[176:177]
	v_add_f64 v[178:179], v[178:179], v[128:129]
	v_add_f64 v[128:129], v[38:39], v[130:131]
	v_mul_f64 v[38:39], v[0:1], s[30:31]
	v_fma_f64 v[130:131], v[239:240], s[8:9], v[38:39]
	v_fma_f64 v[38:39], v[239:240], s[8:9], -v[38:39]
	v_add_f64 v[130:131], v[130:131], v[178:179]
	v_mul_f64 v[178:179], v[186:187], s[36:37]
	v_fma_f64 v[180:181], v[184:185], s[18:19], -v[178:179]
	v_add_f64 v[126:127], v[180:181], v[126:127]
	v_mul_f64 v[180:181], v[188:189], s[36:37]
	v_fma_f64 v[182:183], v[190:191], s[18:19], v[180:181]
	v_add_f64 v[124:125], v[182:183], v[124:125]
	v_mul_f64 v[182:183], v[193:194], s[28:29]
	v_fma_f64 v[40:41], v[201:202], s[8:9], -v[182:183]
	v_add_f64 v[40:41], v[40:41], v[126:127]
	v_fma_f64 v[126:127], v[205:206], s[8:9], v[42:43]
	v_fma_f64 v[42:43], v[205:206], s[8:9], -v[42:43]
	v_add_f64 v[40:41], v[46:47], v[40:41]
	v_mul_f64 v[46:47], v[215:216], s[34:35]
	v_add_f64 v[124:125], v[126:127], v[124:125]
	v_add_f64 v[40:41], v[50:51], v[40:41]
	v_fma_f64 v[126:127], v[217:218], s[20:21], v[46:47]
	v_mul_f64 v[50:51], v[227:228], s[22:23]
	v_fma_f64 v[46:47], v[217:218], s[20:21], -v[46:47]
	v_add_f64 v[124:125], v[126:127], v[124:125]
	v_fma_f64 v[126:127], v[229:230], s[2:3], v[50:51]
	v_fma_f64 v[50:51], v[229:230], s[2:3], -v[50:51]
	v_add_f64 v[126:127], v[126:127], v[124:125]
	v_add_f64 v[124:125], v[54:55], v[40:41]
	v_mul_f64 v[40:41], v[0:1], s[24:25]
	v_mul_f64 v[0:1], v[0:1], s[36:37]
	v_fma_f64 v[54:55], v[239:240], s[16:17], v[40:41]
	v_fma_f64 v[40:41], v[239:240], s[16:17], -v[40:41]
	v_add_f64 v[126:127], v[54:55], v[126:127]
	v_mul_f64 v[54:55], v[186:187], s[22:23]
	v_fma_f64 v[186:187], v[184:185], s[2:3], -v[54:55]
	v_fma_f64 v[54:55], v[184:185], s[2:3], v[54:55]
	v_add_f64 v[134:135], v[186:187], v[134:135]
	v_mul_f64 v[186:187], v[188:189], s[22:23]
	v_add_f64 v[54:55], v[54:55], v[142:143]
	v_fma_f64 v[188:189], v[190:191], s[2:3], v[186:187]
	v_fma_f64 v[142:143], v[190:191], s[2:3], -v[186:187]
	v_add_f64 v[132:133], v[188:189], v[132:133]
	v_mul_f64 v[188:189], v[193:194], s[26:27]
	v_add_f64 v[140:141], v[142:143], v[140:141]
	v_fma_f64 v[193:194], v[201:202], s[10:11], -v[188:189]
	v_fma_f64 v[142:143], v[201:202], s[10:11], v[188:189]
	v_add_f64 v[134:135], v[193:194], v[134:135]
	v_mul_f64 v[193:194], v[203:204], s[26:27]
	v_add_f64 v[54:55], v[142:143], v[54:55]
	v_fma_f64 v[203:204], v[205:206], s[10:11], v[193:194]
	v_fma_f64 v[142:143], v[205:206], s[10:11], -v[193:194]
	v_add_f64 v[132:133], v[203:204], v[132:133]
	v_mul_f64 v[203:204], v[209:210], s[30:31]
	v_add_f64 v[140:141], v[142:143], v[140:141]
	;; [unrolled: 10-line block ×3, first 2 shown]
	v_fma_f64 v[221:222], v[223:224], s[16:17], -v[215:216]
	v_fma_f64 v[142:143], v[223:224], s[16:17], v[215:216]
	v_add_f64 v[134:135], v[221:222], v[134:135]
	v_mul_f64 v[221:222], v[227:228], s[24:25]
	v_add_f64 v[54:55], v[142:143], v[54:55]
	v_fma_f64 v[227:228], v[229:230], s[16:17], v[221:222]
	v_fma_f64 v[142:143], v[229:230], s[16:17], -v[221:222]
	v_add_f64 v[227:228], v[227:228], v[132:133]
	v_fma_f64 v[132:133], v[235:236], s[18:19], -v[233:234]
	v_add_f64 v[142:143], v[142:143], v[140:141]
	v_fma_f64 v[140:141], v[235:236], s[18:19], v[233:234]
	v_add_f64 v[132:133], v[132:133], v[134:135]
	v_fma_f64 v[134:135], v[239:240], s[18:19], v[0:1]
	v_fma_f64 v[0:1], v[239:240], s[18:19], -v[0:1]
	v_add_f64 v[140:141], v[140:141], v[54:55]
	v_fma_f64 v[54:55], v[190:191], s[10:11], -v[164:165]
	v_fma_f64 v[164:165], v[205:206], s[2:3], -v[168:169]
	;; [unrolled: 1-line block ×4, first 2 shown]
	v_add_f64 v[134:135], v[134:135], v[227:228]
	v_add_f64 v[142:143], v[0:1], v[142:143]
	;; [unrolled: 1-line block ×4, first 2 shown]
	v_fma_f64 v[30:31], v[184:185], s[18:19], v[178:179]
	v_add_f64 v[54:55], v[54:55], v[78:79]
	v_add_f64 v[0:1], v[0:1], v[32:33]
	;; [unrolled: 1-line block ×3, first 2 shown]
	v_fma_f64 v[32:33], v[184:185], s[20:21], v[245:246]
	v_fma_f64 v[34:35], v[190:191], s[18:19], -v[180:181]
	v_add_f64 v[30:31], v[30:31], v[80:81]
	v_add_f64 v[0:1], v[0:1], v[148:149]
	;; [unrolled: 1-line block ×3, first 2 shown]
	v_fma_f64 v[148:149], v[190:191], s[20:21], -v[197:198]
	v_fma_f64 v[150:151], v[190:191], s[16:17], -v[207:208]
	v_add_f64 v[34:35], v[34:35], v[82:83]
	v_add_f64 v[32:33], v[32:33], v[68:69]
	v_add_f64 v[0:1], v[0:1], v[152:153]
	v_add_f64 v[28:29], v[28:29], v[154:155]
	v_fma_f64 v[152:153], v[201:202], s[8:9], v[182:183]
	v_fma_f64 v[154:155], v[201:202], s[20:21], v[195:196]
	v_add_f64 v[148:149], v[148:149], v[70:71]
	v_add_f64 v[150:151], v[150:151], v[60:61]
	;; [unrolled: 1-line block ×6, first 2 shown]
	v_fma_f64 v[156:157], v[201:202], s[16:17], v[199:200]
	v_fma_f64 v[158:159], v[201:202], s[2:3], v[166:167]
	;; [unrolled: 1-line block ×3, first 2 shown]
	v_add_f64 v[30:31], v[152:153], v[30:31]
	v_add_f64 v[2:3], v[154:155], v[2:3]
	v_fma_f64 v[152:153], v[229:230], s[20:21], -v[176:177]
	v_fma_f64 v[154:155], v[229:230], s[18:19], -v[237:238]
	v_add_f64 v[34:35], v[46:47], v[34:35]
	v_add_f64 v[42:43], v[168:169], v[42:43]
	;; [unrolled: 1-line block ×4, first 2 shown]
	v_fma_f64 v[160:161], v[205:206], s[20:21], -v[213:214]
	v_fma_f64 v[162:163], v[205:206], s[16:17], -v[247:248]
	v_add_f64 v[10:11], v[158:159], v[10:11]
	v_add_f64 v[32:33], v[156:157], v[32:33]
	;; [unrolled: 1-line block ×6, first 2 shown]
	v_fma_f64 v[116:117], v[211:212], s[18:19], v[170:171]
	v_fma_f64 v[118:119], v[211:212], s[10:11], v[219:220]
	v_fma_f64 v[170:171], v[217:218], s[10:11], -v[225:226]
	v_add_f64 v[54:55], v[162:163], v[148:149]
	v_add_f64 v[148:149], v[160:161], v[150:151]
	v_fma_f64 v[150:151], v[223:224], s[8:9], v[253:254]
	v_add_f64 v[32:33], v[166:167], v[32:33]
	v_add_f64 v[30:31], v[48:49], v[30:31]
	;; [unrolled: 1-line block ×5, first 2 shown]
	v_fma_f64 v[26:27], v[223:224], s[20:21], v[174:175]
	v_fma_f64 v[28:29], v[223:224], s[18:19], v[231:232]
	v_add_f64 v[10:11], v[116:117], v[10:11]
	v_add_f64 v[2:3], v[118:119], v[2:3]
	;; [unrolled: 1-line block ×6, first 2 shown]
	v_fma_f64 v[22:23], v[235:236], s[16:17], v[52:53]
	v_fma_f64 v[24:25], v[235:236], s[8:9], v[36:37]
	;; [unrolled: 1-line block ×3, first 2 shown]
	v_fma_f64 v[52:53], v[239:240], s[2:3], -v[243:244]
	v_add_f64 v[10:11], v[26:27], v[10:11]
	v_add_f64 v[26:27], v[152:153], v[42:43]
	;; [unrolled: 1-line block ×17, first 2 shown]
	ds_write_b128 v255, v[120:123] offset:1904
	ds_write_b128 v255, v[136:139] offset:3808
	;; [unrolled: 1-line block ×12, first 2 shown]
	ds_write_b128 v255, v[116:119]
	s_waitcnt lgkmcnt(0)
	s_waitcnt_vscnt null, 0x0
	s_barrier
	buffer_gl0_inv
	s_and_saveexec_b32 s2, vcc_lo
	s_cbranch_execz .LBB0_13
; %bb.12:
	v_add_co_u32 v12, s1, s12, v255
	v_add_co_ci_u32_e64 v13, null, s13, 0, s1
	v_add_co_u32 v0, s1, 0x6000, v12
	v_add_co_ci_u32_e64 v1, s1, 0, v13, s1
	v_add_co_u32 v2, s1, 0x60b0, v12
	v_add_co_ci_u32_e64 v3, s1, 0, v13, s1
	s_clause 0x1
	global_load_dwordx4 v[164:167], v[0:1], off offset:176
	global_load_dwordx4 v[168:171], v[2:3], off offset:1456
	v_add_co_u32 v0, s1, 0x6800, v12
	v_add_co_ci_u32_e64 v1, s1, 0, v13, s1
	v_add_co_u32 v2, s1, 0x7000, v12
	v_add_co_ci_u32_e64 v3, s1, 0, v13, s1
	s_clause 0x2
	global_load_dwordx4 v[14:17], v[0:1], off offset:1040
	global_load_dwordx4 v[18:21], v[2:3], off offset:448
	;; [unrolled: 1-line block ×3, first 2 shown]
	v_add_co_u32 v0, s1, 0x7800, v12
	v_add_co_ci_u32_e64 v1, s1, 0, v13, s1
	v_add_co_u32 v2, s1, 0x8000, v12
	v_add_co_ci_u32_e64 v3, s1, 0, v13, s1
	global_load_dwordx4 v[26:29], v[0:1], off offset:1312
	v_add_co_u32 v0, s1, 0x8800, v12
	v_add_co_ci_u32_e64 v1, s1, 0, v13, s1
	s_clause 0x2
	global_load_dwordx4 v[30:33], v[2:3], off offset:720
	global_load_dwordx4 v[172:175], v[0:1], off offset:128
	;; [unrolled: 1-line block ×3, first 2 shown]
	v_add_co_u32 v0, s1, 0x9000, v12
	v_add_co_ci_u32_e64 v1, s1, 0, v13, s1
	v_add_co_u32 v2, s1, 0x9800, v12
	v_add_co_ci_u32_e64 v3, s1, 0, v13, s1
	s_clause 0x1
	global_load_dwordx4 v[180:183], v[0:1], off offset:992
	global_load_dwordx4 v[184:187], v[2:3], off offset:400
	v_add_co_u32 v0, s1, 0xa000, v12
	v_add_co_ci_u32_e64 v1, s1, 0, v13, s1
	v_add_co_u32 v4, s1, 0xa800, v12
	v_add_co_ci_u32_e64 v5, s1, 0, v13, s1
	global_load_dwordx4 v[188:191], v[2:3], off offset:1856
	v_add_co_u32 v2, s1, 0xb000, v12
	v_add_co_ci_u32_e64 v3, s1, 0, v13, s1
	s_clause 0x2
	global_load_dwordx4 v[193:196], v[0:1], off offset:1264
	global_load_dwordx4 v[197:200], v[4:5], off offset:672
	;; [unrolled: 1-line block ×3, first 2 shown]
	v_add_co_u32 v0, s1, 0xb800, v12
	v_add_co_ci_u32_e64 v1, s1, 0, v13, s1
	s_clause 0x1
	global_load_dwordx4 v[205:208], v[2:3], off offset:1536
	global_load_dwordx4 v[209:212], v[0:1], off offset:944
	ds_read_b128 v[213:216], v255
	ds_read_b128 v[217:220], v255 offset:1456
	ds_read_b128 v[221:224], v255 offset:2912
	;; [unrolled: 1-line block ×7, first 2 shown]
	s_waitcnt vmcnt(16) lgkmcnt(7)
	v_mul_f64 v[0:1], v[215:216], v[166:167]
	v_mul_f64 v[2:3], v[213:214], v[166:167]
	s_waitcnt vmcnt(15) lgkmcnt(6)
	v_mul_f64 v[4:5], v[219:220], v[170:171]
	v_mul_f64 v[6:7], v[217:218], v[170:171]
	;; [unrolled: 3-line block ×4, first 2 shown]
	s_waitcnt vmcnt(12) lgkmcnt(3)
	v_mul_f64 v[36:37], v[231:232], v[24:25]
	v_fma_f64 v[213:214], v[213:214], v[164:165], -v[0:1]
	v_fma_f64 v[215:216], v[215:216], v[164:165], v[2:3]
	ds_read_b128 v[164:167], v255 offset:11648
	v_mul_f64 v[0:1], v[229:230], v[24:25]
	s_waitcnt vmcnt(11) lgkmcnt(3)
	v_mul_f64 v[2:3], v[235:236], v[28:29]
	v_mul_f64 v[28:29], v[233:234], v[28:29]
	v_fma_f64 v[217:218], v[217:218], v[168:169], -v[4:5]
	v_fma_f64 v[219:220], v[219:220], v[168:169], v[6:7]
	ds_read_b128 v[168:171], v255 offset:13104
	s_waitcnt vmcnt(10) lgkmcnt(3)
	v_mul_f64 v[4:5], v[239:240], v[32:33]
	v_mul_f64 v[6:7], v[237:238], v[32:33]
	v_fma_f64 v[12:13], v[221:222], v[14:15], -v[8:9]
	v_fma_f64 v[14:15], v[223:224], v[14:15], v[10:11]
	s_waitcnt vmcnt(9) lgkmcnt(2)
	v_mul_f64 v[8:9], v[243:244], v[174:175]
	ds_read_b128 v[32:35], v255 offset:14560
	ds_read_b128 v[221:224], v255 offset:16016
	v_mul_f64 v[10:11], v[241:242], v[174:175]
	v_fma_f64 v[16:17], v[225:226], v[18:19], -v[16:17]
	v_fma_f64 v[18:19], v[227:228], v[18:19], v[20:21]
	v_fma_f64 v[20:21], v[229:230], v[22:23], -v[36:37]
	s_waitcnt vmcnt(8) lgkmcnt(3)
	v_mul_f64 v[38:39], v[166:167], v[178:179]
	v_mul_f64 v[40:41], v[164:165], v[178:179]
	v_fma_f64 v[22:23], v[231:232], v[22:23], v[0:1]
	v_fma_f64 v[24:25], v[233:234], v[26:27], -v[2:3]
	ds_read_b128 v[225:228], v255 offset:17472
	ds_read_b128 v[229:232], v255 offset:18928
	s_waitcnt vmcnt(7) lgkmcnt(4)
	v_mul_f64 v[0:1], v[170:171], v[182:183]
	v_mul_f64 v[2:3], v[168:169], v[182:183]
	v_fma_f64 v[26:27], v[235:236], v[26:27], v[28:29]
	v_fma_f64 v[28:29], v[237:238], v[30:31], -v[4:5]
	v_fma_f64 v[30:31], v[239:240], v[30:31], v[6:7]
	ds_read_b128 v[233:236], v255 offset:20384
	ds_read_b128 v[237:240], v255 offset:21840
	s_waitcnt vmcnt(6) lgkmcnt(5)
	v_mul_f64 v[4:5], v[34:35], v[186:187]
	v_mul_f64 v[6:7], v[32:33], v[186:187]
	v_fma_f64 v[241:242], v[241:242], v[172:173], -v[8:9]
	s_waitcnt vmcnt(5) lgkmcnt(4)
	v_mul_f64 v[8:9], v[223:224], v[190:191]
	v_fma_f64 v[243:244], v[243:244], v[172:173], v[10:11]
	ds_read_b128 v[172:175], v255 offset:23296
	v_mul_f64 v[10:11], v[221:222], v[190:191]
	v_fma_f64 v[164:165], v[164:165], v[176:177], -v[38:39]
	v_fma_f64 v[166:167], v[166:167], v[176:177], v[40:41]
	s_waitcnt vmcnt(4) lgkmcnt(4)
	v_mul_f64 v[36:37], v[227:228], v[195:196]
	v_mul_f64 v[38:39], v[225:226], v[195:196]
	s_waitcnt vmcnt(3) lgkmcnt(3)
	v_mul_f64 v[40:41], v[231:232], v[199:200]
	v_mul_f64 v[42:43], v[229:230], v[199:200]
	v_fma_f64 v[168:169], v[168:169], v[180:181], -v[0:1]
	v_fma_f64 v[170:171], v[170:171], v[180:181], v[2:3]
	s_waitcnt vmcnt(2) lgkmcnt(2)
	v_mul_f64 v[0:1], v[235:236], v[203:204]
	v_mul_f64 v[2:3], v[233:234], v[203:204]
	s_waitcnt vmcnt(1) lgkmcnt(1)
	v_mul_f64 v[44:45], v[239:240], v[207:208]
	v_mul_f64 v[46:47], v[237:238], v[207:208]
	v_fma_f64 v[32:33], v[32:33], v[184:185], -v[4:5]
	v_fma_f64 v[34:35], v[34:35], v[184:185], v[6:7]
	s_waitcnt vmcnt(0) lgkmcnt(0)
	v_mul_f64 v[4:5], v[174:175], v[211:212]
	v_mul_f64 v[6:7], v[172:173], v[211:212]
	v_fma_f64 v[176:177], v[221:222], v[188:189], -v[8:9]
	v_fma_f64 v[178:179], v[223:224], v[188:189], v[10:11]
	v_fma_f64 v[180:181], v[225:226], v[193:194], -v[36:37]
	v_fma_f64 v[182:183], v[227:228], v[193:194], v[38:39]
	;; [unrolled: 2-line block ×6, first 2 shown]
	ds_write_b128 v255, v[213:216]
	ds_write_b128 v255, v[217:220] offset:1456
	ds_write_b128 v255, v[12:15] offset:2912
	;; [unrolled: 1-line block ×16, first 2 shown]
.LBB0_13:
	s_or_b32 exec_lo, exec_lo, s2
	s_waitcnt lgkmcnt(0)
	s_barrier
	buffer_gl0_inv
	s_and_saveexec_b32 s1, vcc_lo
	s_cbranch_execz .LBB0_15
; %bb.14:
	ds_read_b128 v[116:119], v255
	ds_read_b128 v[120:123], v255 offset:1456
	ds_read_b128 v[136:139], v255 offset:2912
	;; [unrolled: 1-line block ×14, first 2 shown]
	s_waitcnt lgkmcnt(0)
	buffer_store_dword v0, off, s[60:63], 0 offset:44 ; 4-byte Folded Spill
	buffer_store_dword v1, off, s[60:63], 0 offset:48 ; 4-byte Folded Spill
	;; [unrolled: 1-line block ×4, first 2 shown]
	ds_read_b128 v[0:3], v255 offset:21840
	s_waitcnt lgkmcnt(0)
	buffer_store_dword v0, off, s[60:63], 0 offset:28 ; 4-byte Folded Spill
	buffer_store_dword v1, off, s[60:63], 0 offset:32 ; 4-byte Folded Spill
	;; [unrolled: 1-line block ×4, first 2 shown]
	ds_read_b128 v[0:3], v255 offset:23296
	s_waitcnt lgkmcnt(0)
	buffer_store_dword v0, off, s[60:63], 0 offset:12 ; 4-byte Folded Spill
	buffer_store_dword v1, off, s[60:63], 0 offset:16 ; 4-byte Folded Spill
	;; [unrolled: 1-line block ×4, first 2 shown]
.LBB0_15:
	s_or_b32 exec_lo, exec_lo, s1
	s_clause 0xb
	buffer_load_dword v84, off, s[60:63], 0 offset:12
	buffer_load_dword v85, off, s[60:63], 0 offset:16
	;; [unrolled: 1-line block ×12, first 2 shown]
	s_mov_b32 s10, 0x3259b75e
	s_mov_b32 s11, 0x3fb79ee6
	s_mov_b32 s24, 0xc61f0d01
	s_mov_b32 s25, 0xbfd183b1
	v_add_f64 v[221:222], v[130:131], -v[110:111]
	v_add_f64 v[235:236], v[130:131], v[110:111]
	s_mov_b32 s22, 0x5d8e7cdc
	s_mov_b32 s26, 0x370991
	;; [unrolled: 1-line block ×14, first 2 shown]
	v_add_f64 v[241:242], v[128:129], -v[108:109]
	v_add_f64 v[231:232], v[126:127], -v[114:115]
	s_mov_b32 s30, 0x7c9e640b
	s_mov_b32 s31, 0x3feca52d
	s_mov_b32 s43, 0xbfeca52d
	s_mov_b32 s42, s30
	v_mul_f64 v[10:11], v[221:222], s[22:23]
	v_mul_f64 v[14:15], v[235:236], s[26:27]
	v_add_f64 v[219:220], v[128:129], v[108:109]
	v_add_f64 v[233:234], v[124:125], v[112:113]
	s_mov_b32 s28, 0x2b2883cd
	s_mov_b32 s29, 0x3fdc86fa
	v_add_f64 v[239:240], v[126:127], v[114:115]
	v_add_f64 v[243:244], v[124:125], -v[112:113]
	v_add_f64 v[251:252], v[134:135], -v[150:151]
	s_mov_b32 s36, 0x4363dd80
	s_mov_b32 s37, 0xbfe0d888
	v_add_f64 v[249:250], v[132:133], v[148:149]
	s_mov_b32 s34, 0x910ea3b9
	s_mov_b32 s35, 0xbfeb34fa
	v_add_f64 v[217:218], v[134:135], v[150:151]
	v_add_f64 v[225:226], v[132:133], -v[148:149]
	v_add_f64 v[253:254], v[142:143], -v[154:155]
	s_mov_b32 s40, 0x6c9a05f6
	s_mov_b32 s41, 0xbfe9895b
	;; [unrolled: 1-line block ×4, first 2 shown]
	v_add_f64 v[245:246], v[140:141], v[152:153]
	s_mov_b32 s38, 0x6ed5f1bb
	s_mov_b32 s39, 0xbfe348c8
	v_add_f64 v[223:224], v[142:143], v[154:155]
	v_add_f64 v[213:214], v[162:163], -v[158:159]
	s_mov_b32 s48, 0x2a9d6da3
	s_mov_b32 s49, 0x3fe58eea
	v_add_f64 v[237:238], v[160:161], v[156:157]
	s_mov_b32 s46, 0x75d4884
	s_mov_b32 s47, 0x3fe7a5f6
	v_add_f64 v[247:248], v[162:163], v[158:159]
	v_add_f64 v[229:230], v[160:161], -v[156:157]
	s_mov_b32 s45, 0x3fe0d888
	s_mov_b32 s44, s36
	;; [unrolled: 1-line block ×6, first 2 shown]
	v_mul_f64 v[28:29], v[235:236], s[34:35]
	v_mul_f64 v[26:27], v[231:232], s[56:57]
	;; [unrolled: 1-line block ×3, first 2 shown]
	s_mov_b32 s55, 0xbfe58eea
	s_mov_b32 s54, s48
	v_mul_f64 v[18:19], v[217:218], s[46:47]
	v_mul_f64 v[32:33], v[251:252], s[54:55]
	s_mov_b32 s59, 0x3fc7851a
	s_mov_b32 s58, s8
	v_mul_f64 v[180:181], v[213:214], s[20:21]
	v_mul_f64 v[188:189], v[213:214], s[56:57]
	;; [unrolled: 1-line block ×3, first 2 shown]
	s_waitcnt vmcnt(8)
	v_add_f64 v[203:204], v[122:123], v[86:87]
	v_add_f64 v[201:202], v[122:123], -v[86:87]
	s_waitcnt vmcnt(0)
	v_add_f64 v[209:210], v[146:147], v[62:63]
	v_add_f64 v[199:200], v[120:121], v[84:85]
	v_add_f64 v[193:194], v[138:139], -v[58:59]
	v_add_f64 v[215:216], v[120:121], -v[84:85]
	v_add_f64 v[197:198], v[138:139], v[58:59]
	v_add_f64 v[195:196], v[136:137], v[56:57]
	v_add_f64 v[211:212], v[136:137], -v[56:57]
	v_add_f64 v[227:228], v[144:145], -v[60:61]
	;; [unrolled: 1-line block ×3, first 2 shown]
	v_add_f64 v[207:208], v[144:145], v[60:61]
	v_mul_f64 v[2:3], v[203:204], s[10:11]
	v_mul_f64 v[78:79], v[201:202], s[2:3]
	;; [unrolled: 1-line block ×9, first 2 shown]
	buffer_store_dword v2, off, s[60:63], 0 offset:352 ; 4-byte Folded Spill
	buffer_store_dword v3, off, s[60:63], 0 offset:356 ; 4-byte Folded Spill
	;; [unrolled: 1-line block ×8, first 2 shown]
	v_fma_f64 v[0:1], v[199:200], s[10:11], -v[78:79]
	v_fma_f64 v[4:5], v[195:196], s[16:17], -v[76:77]
	v_fma_f64 v[6:7], v[211:212], s[8:9], v[82:83]
	v_mul_f64 v[80:81], v[205:206], s[18:19]
	v_add_f64 v[0:1], v[116:117], v[0:1]
	v_fma_f64 v[8:9], v[207:208], s[24:25], -v[80:81]
	v_add_f64 v[0:1], v[4:5], v[0:1]
	v_add_f64 v[0:1], v[8:9], v[0:1]
	v_fma_f64 v[2:3], v[215:216], s[2:3], v[2:3]
	v_fma_f64 v[4:5], v[227:228], s[18:19], v[12:13]
	v_add_f64 v[12:13], v[140:141], -v[152:153]
	v_add_f64 v[2:3], v[118:119], v[2:3]
	v_add_f64 v[2:3], v[6:7], v[2:3]
	v_fma_f64 v[6:7], v[219:220], s[26:27], -v[10:11]
	v_mul_f64 v[10:11], v[197:198], s[28:29]
	v_add_f64 v[2:3], v[4:5], v[2:3]
	v_fma_f64 v[4:5], v[241:242], s[22:23], v[14:15]
	v_add_f64 v[0:1], v[6:7], v[0:1]
	v_mul_f64 v[14:15], v[223:224], s[16:17]
	v_fma_f64 v[36:37], v[211:212], s[42:43], v[10:11]
	v_add_f64 v[2:3], v[4:5], v[2:3]
	v_mul_f64 v[4:5], v[231:232], s[42:43]
	buffer_store_dword v4, off, s[60:63], 0 offset:384 ; 4-byte Folded Spill
	buffer_store_dword v5, off, s[60:63], 0 offset:388 ; 4-byte Folded Spill
	v_fma_f64 v[4:5], v[233:234], s[28:29], -v[4:5]
	v_add_f64 v[0:1], v[4:5], v[0:1]
	v_mul_f64 v[4:5], v[239:240], s[28:29]
	buffer_store_dword v4, off, s[60:63], 0 offset:392 ; 4-byte Folded Spill
	buffer_store_dword v5, off, s[60:63], 0 offset:396 ; 4-byte Folded Spill
	v_fma_f64 v[4:5], v[243:244], s[42:43], v[4:5]
	v_add_f64 v[2:3], v[4:5], v[2:3]
	v_mul_f64 v[4:5], v[251:252], s[36:37]
	buffer_store_dword v4, off, s[60:63], 0 offset:400 ; 4-byte Folded Spill
	buffer_store_dword v5, off, s[60:63], 0 offset:404 ; 4-byte Folded Spill
	v_fma_f64 v[4:5], v[249:250], s[34:35], -v[4:5]
	v_add_f64 v[0:1], v[4:5], v[0:1]
	v_mul_f64 v[4:5], v[217:218], s[34:35]
	buffer_store_dword v4, off, s[60:63], 0 offset:416 ; 4-byte Folded Spill
	buffer_store_dword v5, off, s[60:63], 0 offset:420 ; 4-byte Folded Spill
	;; [unrolled: 10-line block ×3, first 2 shown]
	v_fma_f64 v[4:5], v[12:13], s[52:53], v[4:5]
	v_add_f64 v[2:3], v[4:5], v[2:3]
	v_mul_f64 v[4:5], v[213:214], s[48:49]
	buffer_store_dword v4, off, s[60:63], 0 offset:424 ; 4-byte Folded Spill
	buffer_store_dword v5, off, s[60:63], 0 offset:428 ; 4-byte Folded Spill
	v_fma_f64 v[4:5], v[237:238], s[46:47], -v[4:5]
	v_add_f64 v[164:165], v[4:5], v[0:1]
	v_mul_f64 v[0:1], v[247:248], s[46:47]
	v_mul_f64 v[4:5], v[197:198], s[34:35]
	buffer_store_dword v0, off, s[60:63], 0 offset:440 ; 4-byte Folded Spill
	buffer_store_dword v1, off, s[60:63], 0 offset:444 ; 4-byte Folded Spill
	v_fma_f64 v[0:1], v[229:230], s[48:49], v[0:1]
	v_add_f64 v[166:167], v[0:1], v[2:3]
	v_mul_f64 v[2:3], v[193:194], s[44:45]
	v_fma_f64 v[0:1], v[199:200], s[24:25], -v[24:25]
	buffer_store_dword v2, off, s[60:63], 0 offset:448 ; 4-byte Folded Spill
	buffer_store_dword v3, off, s[60:63], 0 offset:452 ; 4-byte Folded Spill
	;; [unrolled: 1-line block ×4, first 2 shown]
	v_add_f64 v[0:1], v[116:117], v[0:1]
	v_fma_f64 v[2:3], v[195:196], s[34:35], -v[2:3]
	v_fma_f64 v[4:5], v[211:212], s[44:45], v[4:5]
	v_add_f64 v[0:1], v[2:3], v[0:1]
	v_fma_f64 v[2:3], v[215:216], s[20:21], v[30:31]
	v_add_f64 v[2:3], v[118:119], v[2:3]
	v_add_f64 v[2:3], v[4:5], v[2:3]
	v_mul_f64 v[4:5], v[205:206], s[48:49]
	buffer_store_dword v4, off, s[60:63], 0 offset:456 ; 4-byte Folded Spill
	buffer_store_dword v5, off, s[60:63], 0 offset:460 ; 4-byte Folded Spill
	v_fma_f64 v[4:5], v[207:208], s[46:47], -v[4:5]
	v_add_f64 v[0:1], v[4:5], v[0:1]
	v_mul_f64 v[4:5], v[209:210], s[46:47]
	buffer_store_dword v4, off, s[60:63], 0 offset:496 ; 4-byte Folded Spill
	buffer_store_dword v5, off, s[60:63], 0 offset:500 ; 4-byte Folded Spill
	v_fma_f64 v[4:5], v[227:228], s[48:49], v[4:5]
	v_add_f64 v[2:3], v[4:5], v[2:3]
	v_mul_f64 v[4:5], v[221:222], s[42:43]
	buffer_store_dword v4, off, s[60:63], 0 offset:488 ; 4-byte Folded Spill
	buffer_store_dword v5, off, s[60:63], 0 offset:492 ; 4-byte Folded Spill
	v_fma_f64 v[4:5], v[219:220], s[28:29], -v[4:5]
	v_add_f64 v[0:1], v[4:5], v[0:1]
	v_mul_f64 v[4:5], v[235:236], s[28:29]
	buffer_store_dword v4, off, s[60:63], 0 offset:520 ; 4-byte Folded Spill
	buffer_store_dword v5, off, s[60:63], 0 offset:524 ; 4-byte Folded Spill
	v_fma_f64 v[4:5], v[241:242], s[42:43], v[4:5]
	;; [unrolled: 10-line block ×5, first 2 shown]
	v_add_f64 v[2:3], v[4:5], v[2:3]
	v_mul_f64 v[4:5], v[213:214], s[40:41]
	buffer_store_dword v4, off, s[60:63], 0 offset:464 ; 4-byte Folded Spill
	buffer_store_dword v5, off, s[60:63], 0 offset:468 ; 4-byte Folded Spill
	v_fma_f64 v[4:5], v[237:238], s[38:39], -v[4:5]
	v_add_f64 v[172:173], v[4:5], v[0:1]
	v_mul_f64 v[0:1], v[247:248], s[38:39]
	buffer_store_dword v0, off, s[60:63], 0 offset:512 ; 4-byte Folded Spill
	buffer_store_dword v1, off, s[60:63], 0 offset:516 ; 4-byte Folded Spill
	v_mul_f64 v[4:5], v[197:198], s[24:25]
	v_fma_f64 v[0:1], v[229:230], s[40:41], v[0:1]
	v_add_f64 v[174:175], v[0:1], v[2:3]
	v_mul_f64 v[2:3], v[193:194], s[18:19]
	buffer_store_dword v2, off, s[60:63], 0 offset:576 ; 4-byte Folded Spill
	buffer_store_dword v3, off, s[60:63], 0 offset:580 ; 4-byte Folded Spill
	;; [unrolled: 1-line block ×4, first 2 shown]
	v_fma_f64 v[0:1], v[199:200], s[38:39], -v[20:21]
	v_add_f64 v[0:1], v[116:117], v[0:1]
	v_fma_f64 v[2:3], v[195:196], s[24:25], -v[2:3]
	v_fma_f64 v[4:5], v[211:212], s[18:19], v[4:5]
	v_add_f64 v[0:1], v[2:3], v[0:1]
	v_fma_f64 v[2:3], v[215:216], s[40:41], v[22:23]
	v_add_f64 v[2:3], v[118:119], v[2:3]
	v_add_f64 v[2:3], v[4:5], v[2:3]
	v_mul_f64 v[4:5], v[205:206], s[50:51]
	buffer_store_dword v4, off, s[60:63], 0 offset:584 ; 4-byte Folded Spill
	buffer_store_dword v5, off, s[60:63], 0 offset:588 ; 4-byte Folded Spill
	v_fma_f64 v[4:5], v[207:208], s[26:27], -v[4:5]
	v_add_f64 v[0:1], v[4:5], v[0:1]
	v_mul_f64 v[4:5], v[209:210], s[26:27]
	buffer_store_dword v4, off, s[60:63], 0 offset:608 ; 4-byte Folded Spill
	buffer_store_dword v5, off, s[60:63], 0 offset:612 ; 4-byte Folded Spill
	v_fma_f64 v[4:5], v[227:228], s[50:51], v[4:5]
	v_add_f64 v[2:3], v[4:5], v[2:3]
	v_mul_f64 v[4:5], v[221:222], s[36:37]
	buffer_store_dword v4, off, s[60:63], 0 offset:600 ; 4-byte Folded Spill
	buffer_store_dword v5, off, s[60:63], 0 offset:604 ; 4-byte Folded Spill
	v_fma_f64 v[4:5], v[219:220], s[34:35], -v[4:5]
	v_add_f64 v[0:1], v[4:5], v[0:1]
	v_fma_f64 v[4:5], v[241:242], s[36:37], v[28:29]
	v_add_f64 v[2:3], v[4:5], v[2:3]
	v_fma_f64 v[4:5], v[233:234], s[10:11], -v[26:27]
	v_add_f64 v[0:1], v[4:5], v[0:1]
	v_fma_f64 v[4:5], v[243:244], s[56:57], v[34:35]
	v_add_f64 v[2:3], v[4:5], v[2:3]
	;; [unrolled: 4-line block ×3, first 2 shown]
	v_mul_f64 v[4:5], v[253:254], s[8:9]
	buffer_store_dword v4, off, s[60:63], 0 offset:568 ; 4-byte Folded Spill
	buffer_store_dword v5, off, s[60:63], 0 offset:572 ; 4-byte Folded Spill
	v_fma_f64 v[4:5], v[245:246], s[16:17], -v[4:5]
	v_add_f64 v[0:1], v[4:5], v[0:1]
	v_fma_f64 v[4:5], v[12:13], s[8:9], v[14:15]
	v_add_f64 v[2:3], v[4:5], v[2:3]
	v_mul_f64 v[4:5], v[213:214], s[30:31]
	buffer_store_dword v4, off, s[60:63], 0 offset:560 ; 4-byte Folded Spill
	buffer_store_dword v5, off, s[60:63], 0 offset:564 ; 4-byte Folded Spill
	s_waitcnt_vscnt null, 0x0
	s_barrier
	buffer_gl0_inv
	v_fma_f64 v[4:5], v[237:238], s[28:29], -v[4:5]
	v_add_f64 v[176:177], v[4:5], v[0:1]
	v_fma_f64 v[0:1], v[229:230], s[30:31], v[16:17]
	v_mul_f64 v[4:5], v[193:194], s[30:31]
	v_add_f64 v[178:179], v[0:1], v[2:3]
	v_mul_f64 v[0:1], v[201:202], s[36:37]
	v_fma_f64 v[6:7], v[195:196], s[28:29], v[4:5]
	v_fma_f64 v[4:5], v[195:196], s[28:29], -v[4:5]
	v_fma_f64 v[2:3], v[199:200], s[34:35], v[0:1]
	v_fma_f64 v[0:1], v[199:200], s[34:35], -v[0:1]
	v_add_f64 v[2:3], v[116:117], v[2:3]
	v_add_f64 v[0:1], v[116:117], v[0:1]
	;; [unrolled: 1-line block ×3, first 2 shown]
	v_mul_f64 v[6:7], v[203:204], s[34:35]
	v_add_f64 v[0:1], v[4:5], v[0:1]
	v_fma_f64 v[8:9], v[215:216], s[44:45], v[6:7]
	v_fma_f64 v[4:5], v[215:216], s[36:37], v[6:7]
	;; [unrolled: 1-line block ×3, first 2 shown]
	v_mul_f64 v[10:11], v[197:198], s[26:27]
	v_add_f64 v[8:9], v[118:119], v[8:9]
	v_add_f64 v[4:5], v[118:119], v[4:5]
	;; [unrolled: 1-line block ×3, first 2 shown]
	v_mul_f64 v[36:37], v[205:206], s[2:3]
	v_add_f64 v[4:5], v[6:7], v[4:5]
	v_fma_f64 v[38:39], v[207:208], s[10:11], v[36:37]
	v_fma_f64 v[6:7], v[207:208], s[10:11], -v[36:37]
	v_fma_f64 v[36:37], v[211:212], s[50:51], v[10:11]
	v_add_f64 v[2:3], v[38:39], v[2:3]
	v_mul_f64 v[38:39], v[209:210], s[10:11]
	v_add_f64 v[0:1], v[6:7], v[0:1]
	v_fma_f64 v[40:41], v[227:228], s[56:57], v[38:39]
	v_fma_f64 v[6:7], v[227:228], s[2:3], v[38:39]
	v_add_f64 v[8:9], v[40:41], v[8:9]
	v_mul_f64 v[40:41], v[221:222], s[52:53]
	v_add_f64 v[4:5], v[6:7], v[4:5]
	v_fma_f64 v[42:43], v[219:220], s[38:39], v[40:41]
	v_fma_f64 v[6:7], v[219:220], s[38:39], -v[40:41]
	v_add_f64 v[2:3], v[42:43], v[2:3]
	v_mul_f64 v[42:43], v[235:236], s[38:39]
	v_add_f64 v[0:1], v[6:7], v[0:1]
	v_fma_f64 v[44:45], v[241:242], s[40:41], v[42:43]
	v_fma_f64 v[6:7], v[241:242], s[52:53], v[42:43]
	v_add_f64 v[8:9], v[44:45], v[8:9]
	v_mul_f64 v[44:45], v[231:232], s[50:51]
	v_add_f64 v[4:5], v[6:7], v[4:5]
	v_fma_f64 v[46:47], v[233:234], s[26:27], v[44:45]
	v_fma_f64 v[6:7], v[233:234], s[26:27], -v[44:45]
	v_add_f64 v[2:3], v[46:47], v[2:3]
	v_mul_f64 v[46:47], v[239:240], s[26:27]
	v_add_f64 v[0:1], v[6:7], v[0:1]
	v_fma_f64 v[48:49], v[243:244], s[22:23], v[46:47]
	v_fma_f64 v[6:7], v[243:244], s[50:51], v[46:47]
	v_add_f64 v[8:9], v[48:49], v[8:9]
	v_mul_f64 v[48:49], v[251:252], s[8:9]
	v_add_f64 v[4:5], v[6:7], v[4:5]
	v_fma_f64 v[50:51], v[249:250], s[16:17], v[48:49]
	v_fma_f64 v[6:7], v[249:250], s[16:17], -v[48:49]
	v_add_f64 v[2:3], v[50:51], v[2:3]
	v_mul_f64 v[50:51], v[217:218], s[16:17]
	v_add_f64 v[0:1], v[6:7], v[0:1]
	v_fma_f64 v[52:53], v[225:226], s[58:59], v[50:51]
	v_fma_f64 v[6:7], v[225:226], s[8:9], v[50:51]
	v_add_f64 v[8:9], v[52:53], v[8:9]
	v_mul_f64 v[52:53], v[253:254], s[48:49]
	v_add_f64 v[4:5], v[6:7], v[4:5]
	v_fma_f64 v[54:55], v[245:246], s[46:47], v[52:53]
	v_fma_f64 v[6:7], v[245:246], s[46:47], -v[52:53]
	v_add_f64 v[2:3], v[54:55], v[2:3]
	v_mul_f64 v[54:55], v[223:224], s[46:47]
	v_add_f64 v[0:1], v[6:7], v[0:1]
	v_fma_f64 v[168:169], v[12:13], s[54:55], v[54:55]
	v_fma_f64 v[6:7], v[12:13], s[48:49], v[54:55]
	v_add_f64 v[8:9], v[168:169], v[8:9]
	v_fma_f64 v[168:169], v[237:238], s[24:25], v[180:181]
	v_add_f64 v[4:5], v[6:7], v[4:5]
	v_fma_f64 v[6:7], v[237:238], s[24:25], -v[180:181]
	v_add_f64 v[68:69], v[168:169], v[2:3]
	v_mul_f64 v[2:3], v[247:248], s[24:25]
	v_add_f64 v[180:181], v[6:7], v[0:1]
	v_mul_f64 v[0:1], v[201:202], s[8:9]
	v_fma_f64 v[170:171], v[229:230], s[18:19], v[2:3]
	v_fma_f64 v[2:3], v[229:230], s[20:21], v[2:3]
	v_add_f64 v[70:71], v[170:171], v[8:9]
	v_add_f64 v[182:183], v[2:3], v[4:5]
	v_fma_f64 v[2:3], v[199:200], s[16:17], v[0:1]
	v_mul_f64 v[4:5], v[193:194], s[22:23]
	v_fma_f64 v[0:1], v[199:200], s[16:17], -v[0:1]
	v_add_f64 v[2:3], v[116:117], v[2:3]
	v_fma_f64 v[6:7], v[195:196], s[26:27], v[4:5]
	v_add_f64 v[0:1], v[116:117], v[0:1]
	v_fma_f64 v[4:5], v[195:196], s[26:27], -v[4:5]
	v_add_f64 v[2:3], v[6:7], v[2:3]
	v_mul_f64 v[6:7], v[203:204], s[16:17]
	v_add_f64 v[0:1], v[4:5], v[0:1]
	v_fma_f64 v[8:9], v[215:216], s[58:59], v[6:7]
	v_fma_f64 v[4:5], v[215:216], s[8:9], v[6:7]
	;; [unrolled: 1-line block ×3, first 2 shown]
	v_add_f64 v[8:9], v[118:119], v[8:9]
	v_add_f64 v[4:5], v[118:119], v[4:5]
	;; [unrolled: 1-line block ×3, first 2 shown]
	v_mul_f64 v[36:37], v[205:206], s[36:37]
	v_add_f64 v[4:5], v[6:7], v[4:5]
	v_fma_f64 v[38:39], v[207:208], s[34:35], v[36:37]
	v_fma_f64 v[6:7], v[207:208], s[34:35], -v[36:37]
	v_add_f64 v[2:3], v[38:39], v[2:3]
	v_mul_f64 v[38:39], v[209:210], s[34:35]
	v_add_f64 v[0:1], v[6:7], v[0:1]
	v_fma_f64 v[40:41], v[227:228], s[44:45], v[38:39]
	v_fma_f64 v[6:7], v[227:228], s[36:37], v[38:39]
	v_add_f64 v[8:9], v[40:41], v[8:9]
	v_mul_f64 v[40:41], v[221:222], s[48:49]
	v_add_f64 v[4:5], v[6:7], v[4:5]
	v_fma_f64 v[42:43], v[219:220], s[46:47], v[40:41]
	v_fma_f64 v[6:7], v[219:220], s[46:47], -v[40:41]
	v_add_f64 v[2:3], v[42:43], v[2:3]
	v_mul_f64 v[42:43], v[235:236], s[46:47]
	v_add_f64 v[0:1], v[6:7], v[0:1]
	v_fma_f64 v[44:45], v[241:242], s[54:55], v[42:43]
	v_fma_f64 v[6:7], v[241:242], s[48:49], v[42:43]
	v_add_f64 v[8:9], v[44:45], v[8:9]
	;; [unrolled: 10-line block ×5, first 2 shown]
	v_fma_f64 v[184:185], v[237:238], s[10:11], v[188:189]
	v_add_f64 v[4:5], v[6:7], v[4:5]
	v_fma_f64 v[6:7], v[237:238], s[10:11], -v[188:189]
	v_add_f64 v[184:185], v[184:185], v[2:3]
	v_mul_f64 v[2:3], v[247:248], s[10:11]
	v_add_f64 v[188:189], v[6:7], v[0:1]
	v_fma_f64 v[186:187], v[229:230], s[2:3], v[2:3]
	v_fma_f64 v[2:3], v[229:230], s[56:57], v[2:3]
	v_add_f64 v[186:187], v[186:187], v[8:9]
	v_add_f64 v[190:191], v[2:3], v[4:5]
	s_and_saveexec_b32 s1, vcc_lo
	s_cbranch_execz .LBB0_17
; %bb.16:
	v_add_f64 v[0:1], v[118:119], v[122:123]
	v_add_f64 v[2:3], v[116:117], v[120:121]
	v_mul_f64 v[4:5], v[215:216], s[40:41]
	v_mul_f64 v[6:7], v[199:200], s[38:39]
	;; [unrolled: 1-line block ×11, first 2 shown]
	v_mov_b32_e32 v171, v107
	v_mov_b32_e32 v170, v106
	;; [unrolled: 1-line block ×9, first 2 shown]
	v_add_f64 v[0:1], v[0:1], v[138:139]
	v_add_f64 v[2:3], v[2:3], v[136:137]
	v_add_f64 v[4:5], v[22:23], -v[4:5]
	s_clause 0x1
	buffer_load_dword v22, off, s[60:63], 0 offset:352
	buffer_load_dword v23, off, s[60:63], 0 offset:356
	v_add_f64 v[6:7], v[6:7], v[20:21]
	v_mul_f64 v[20:21], v[215:216], s[2:3]
	v_add_f64 v[10:11], v[10:11], v[24:25]
	v_fma_f64 v[50:51], v[199:200], s[28:29], -v[44:45]
	v_fma_f64 v[44:45], v[199:200], s[28:29], v[44:45]
	v_fma_f64 v[52:53], v[199:200], s[46:47], v[46:47]
	v_fma_f64 v[46:47], v[199:200], s[46:47], -v[46:47]
	v_fma_f64 v[54:55], v[199:200], s[26:27], v[48:49]
	v_fma_f64 v[48:49], v[199:200], s[26:27], -v[48:49]
	v_add_f64 v[8:9], v[30:31], -v[8:9]
	v_mul_f64 v[24:25], v[215:216], s[42:43]
	v_mul_f64 v[30:31], v[215:216], s[54:55]
	v_fma_f64 v[42:43], v[203:204], s[26:27], -v[36:37]
	v_fma_f64 v[36:37], v[203:204], s[26:27], v[36:37]
	v_mul_f64 v[136:137], v[219:220], s[28:29]
	v_mul_f64 v[138:139], v[207:208], s[46:47]
	;; [unrolled: 1-line block ×3, first 2 shown]
	v_mov_b32_e32 v98, v90
	v_add_f64 v[0:1], v[0:1], v[146:147]
	v_add_f64 v[2:3], v[2:3], v[144:145]
	v_add_f64 v[4:5], v[118:119], v[4:5]
	v_mul_f64 v[144:145], v[227:228], s[18:19]
	v_add_f64 v[6:7], v[116:117], v[6:7]
	v_mul_f64 v[146:147], v[241:242], s[22:23]
	v_add_f64 v[10:11], v[116:117], v[10:11]
	v_add_f64 v[50:51], v[116:117], v[50:51]
	;; [unrolled: 1-line block ×8, first 2 shown]
	v_fma_f64 v[38:39], v[203:204], s[28:29], v[24:25]
	v_fma_f64 v[24:25], v[203:204], s[28:29], -v[24:25]
	v_fma_f64 v[40:41], v[203:204], s[46:47], -v[30:31]
	v_fma_f64 v[30:31], v[203:204], s[46:47], v[30:31]
	v_add_f64 v[42:43], v[118:119], v[42:43]
	v_add_f64 v[36:37], v[118:119], v[36:37]
	v_mul_f64 v[203:204], v[237:238], s[38:39]
	v_mov_b32_e32 v97, v89
	v_add_f64 v[0:1], v[0:1], v[130:131]
	v_add_f64 v[2:3], v[2:3], v[128:129]
	v_mul_f64 v[128:129], v[211:212], s[44:45]
	v_mul_f64 v[130:131], v[249:250], s[10:11]
	v_mov_b32_e32 v96, v88
	v_mov_b32_e32 v91, v67
	;; [unrolled: 1-line block ×5, first 2 shown]
	v_add_f64 v[38:39], v[118:119], v[38:39]
	v_add_f64 v[24:25], v[118:119], v[24:25]
	;; [unrolled: 1-line block ×6, first 2 shown]
	v_mul_f64 v[124:125], v[241:242], s[42:43]
	v_mul_f64 v[126:127], v[227:228], s[48:49]
	v_add_f64 v[0:1], v[0:1], v[134:135]
	v_add_f64 v[2:3], v[2:3], v[132:133]
	v_mul_f64 v[132:133], v[233:234], s[16:17]
	v_mul_f64 v[134:135], v[195:196], s[34:35]
	v_add_f64 v[0:1], v[0:1], v[142:143]
	v_add_f64 v[2:3], v[2:3], v[140:141]
	;; [unrolled: 4-line block ×3, first 2 shown]
	v_mul_f64 v[160:161], v[245:246], s[26:27]
	v_mul_f64 v[162:163], v[233:234], s[28:29]
	v_add_f64 v[142:143], v[82:83], -v[142:143]
	v_add_f64 v[0:1], v[0:1], v[158:159]
	v_add_f64 v[2:3], v[2:3], v[156:157]
	v_mul_f64 v[156:157], v[245:246], s[16:17]
	v_mul_f64 v[158:159], v[229:230], s[40:41]
	v_add_f64 v[0:1], v[0:1], v[154:155]
	v_add_f64 v[2:3], v[2:3], v[152:153]
	v_mul_f64 v[152:153], v[243:244], s[42:43]
	v_mul_f64 v[154:155], v[219:220], s[26:27]
	v_add_f64 v[0:1], v[0:1], v[150:151]
	v_add_f64 v[2:3], v[2:3], v[148:149]
	v_mul_f64 v[148:149], v[195:196], s[16:17]
	v_mul_f64 v[150:151], v[207:208], s[24:25]
	v_add_f64 v[0:1], v[0:1], v[114:115]
	v_add_f64 v[2:3], v[2:3], v[112:113]
	v_mul_f64 v[112:113], v[249:250], s[46:47]
	v_mul_f64 v[114:115], v[207:208], s[26:27]
	v_add_f64 v[148:149], v[148:149], v[76:77]
	v_add_f64 v[150:151], v[150:151], v[80:81]
	;; [unrolled: 1-line block ×4, first 2 shown]
	v_mul_f64 v[108:109], v[229:230], s[30:31]
	v_mul_f64 v[110:111], v[211:212], s[18:19]
	v_add_f64 v[32:33], v[112:113], v[32:33]
	v_mul_f64 v[112:113], v[233:234], s[10:11]
	v_add_f64 v[0:1], v[0:1], v[62:63]
	v_add_f64 v[2:3], v[2:3], v[60:61]
	v_add_f64 v[26:27], v[112:113], v[26:27]
	v_mul_f64 v[112:113], v[219:220], s[34:35]
	v_add_f64 v[0:1], v[0:1], v[58:59]
	v_mul_f64 v[58:59], v[211:212], s[2:3]
	buffer_store_dword v0, off, s[60:63], 0 offset:44 ; 4-byte Folded Spill
	buffer_store_dword v1, off, s[60:63], 0 offset:48 ; 4-byte Folded Spill
	v_add_f64 v[0:1], v[2:3], v[56:57]
	v_mul_f64 v[56:57], v[211:212], s[40:41]
	v_mul_f64 v[211:212], v[211:212], s[54:55]
	v_fma_f64 v[62:63], v[197:198], s[10:11], -v[58:59]
	v_fma_f64 v[58:59], v[197:198], s[10:11], v[58:59]
	buffer_store_dword v0, off, s[60:63], 0 offset:28 ; 4-byte Folded Spill
	buffer_store_dword v1, off, s[60:63], 0 offset:32 ; 4-byte Folded Spill
	v_add_f64 v[0:1], v[16:17], -v[108:109]
	v_mul_f64 v[108:109], v[12:13], s[8:9]
	s_waitcnt vmcnt(0)
	v_add_f64 v[20:21], v[22:23], -v[20:21]
	v_mul_f64 v[22:23], v[199:200], s[10:11]
	v_mul_f64 v[199:200], v[12:13], s[52:53]
	;; [unrolled: 1-line block ×3, first 2 shown]
	v_fma_f64 v[60:61], v[197:198], s[38:39], v[56:57]
	v_fma_f64 v[56:57], v[197:198], s[38:39], -v[56:57]
	v_fma_f64 v[64:65], v[197:198], s[46:47], -v[211:212]
	v_fma_f64 v[66:67], v[197:198], s[46:47], v[211:212]
	v_mul_f64 v[197:198], v[193:194], s[40:41]
	v_mul_f64 v[211:212], v[193:194], s[2:3]
	;; [unrolled: 1-line block ×3, first 2 shown]
	v_add_f64 v[40:41], v[62:63], v[40:41]
	v_add_f64 v[30:31], v[58:59], v[30:31]
	v_mul_f64 v[58:59], v[241:242], s[8:9]
	buffer_store_dword v0, off, s[60:63], 0 offset:352 ; 4-byte Folded Spill
	buffer_store_dword v1, off, s[60:63], 0 offset:356 ; 4-byte Folded Spill
	s_clause 0x1
	buffer_load_dword v0, off, s[60:63], 0 offset:608
	buffer_load_dword v1, off, s[60:63], 0 offset:612
	v_add_f64 v[14:15], v[14:15], -v[108:109]
	v_mul_f64 v[108:109], v[225:226], s[54:55]
	v_add_f64 v[22:23], v[22:23], v[78:79]
	v_add_f64 v[20:21], v[118:119], v[20:21]
	v_mul_f64 v[118:119], v[12:13], s[50:51]
	v_add_f64 v[38:39], v[60:61], v[38:39]
	v_add_f64 v[24:25], v[56:57], v[24:25]
	v_mul_f64 v[56:57], v[241:242], s[18:19]
	v_add_f64 v[42:43], v[64:65], v[42:43]
	v_mul_f64 v[60:61], v[241:242], s[2:3]
	;; [unrolled: 2-line block ×3, first 2 shown]
	v_fma_f64 v[64:65], v[235:236], s[16:17], -v[58:59]
	v_fma_f64 v[58:59], v[235:236], s[16:17], v[58:59]
	v_add_f64 v[18:19], v[18:19], -v[108:109]
	v_mul_f64 v[108:109], v[243:244], s[56:57]
	v_add_f64 v[22:23], v[116:117], v[22:23]
	v_mul_f64 v[116:117], v[195:196], s[24:25]
	v_add_f64 v[20:21], v[142:143], v[20:21]
	v_fma_f64 v[62:63], v[235:236], s[24:25], v[56:57]
	v_fma_f64 v[56:57], v[235:236], s[24:25], -v[56:57]
	v_add_f64 v[34:35], v[34:35], -v[108:109]
	v_mul_f64 v[108:109], v[241:242], s[36:37]
	v_add_f64 v[22:23], v[148:149], v[22:23]
	v_add_f64 v[28:29], v[28:29], -v[108:109]
	v_mul_f64 v[108:109], v[227:228], s[50:51]
	v_add_f64 v[22:23], v[150:151], v[22:23]
	s_waitcnt vmcnt(0)
	v_add_f64 v[108:109], v[0:1], -v[108:109]
	s_clause 0x1
	buffer_load_dword v0, off, s[60:63], 0 offset:592
	buffer_load_dword v1, off, s[60:63], 0 offset:596
	s_waitcnt vmcnt(0)
	v_add_f64 v[110:111], v[0:1], -v[110:111]
	s_clause 0x1
	buffer_load_dword v0, off, s[60:63], 0 offset:600
	buffer_load_dword v1, off, s[60:63], 0 offset:604
	v_add_f64 v[4:5], v[110:111], v[4:5]
	v_mul_f64 v[110:111], v[205:206], s[58:59]
	v_add_f64 v[4:5], v[108:109], v[4:5]
	v_add_f64 v[4:5], v[28:29], v[4:5]
	v_mul_f64 v[28:29], v[221:222], s[18:19]
	v_add_f64 v[4:5], v[34:35], v[4:5]
	v_add_f64 v[4:5], v[18:19], v[4:5]
	;; [unrolled: 1-line block ×3, first 2 shown]
	v_mul_f64 v[14:15], v[243:244], s[20:21]
	s_waitcnt vmcnt(0)
	v_add_f64 v[112:113], v[112:113], v[0:1]
	s_clause 0x1
	buffer_load_dword v0, off, s[60:63], 0 offset:584
	buffer_load_dword v1, off, s[60:63], 0 offset:588
	s_waitcnt vmcnt(0)
	v_add_f64 v[114:115], v[114:115], v[0:1]
	s_clause 0x1
	buffer_load_dword v0, off, s[60:63], 0 offset:576
	buffer_load_dword v1, off, s[60:63], 0 offset:580
	;; [unrolled: 5-line block ×3, first 2 shown]
	v_add_f64 v[6:7], v[116:117], v[6:7]
	v_mul_f64 v[116:117], v[205:206], s[40:41]
	v_add_f64 v[6:7], v[114:115], v[6:7]
	v_fma_f64 v[142:143], v[207:208], s[38:39], v[116:117]
	v_fma_f64 v[116:117], v[207:208], s[38:39], -v[116:117]
	v_add_f64 v[6:7], v[112:113], v[6:7]
	v_add_f64 v[6:7], v[26:27], v[6:7]
	v_mul_f64 v[26:27], v[243:244], s[48:49]
	v_add_f64 v[6:7], v[32:33], v[6:7]
	v_fma_f64 v[34:35], v[239:240], s[46:47], v[26:27]
	v_fma_f64 v[26:27], v[239:240], s[46:47], -v[26:27]
	s_waitcnt vmcnt(0)
	v_add_f64 v[118:119], v[0:1], -v[118:119]
	s_clause 0x1
	buffer_load_dword v0, off, s[60:63], 0 offset:544
	buffer_load_dword v1, off, s[60:63], 0 offset:548
	s_waitcnt vmcnt(0)
	v_add_f64 v[120:121], v[0:1], -v[120:121]
	s_clause 0x1
	buffer_load_dword v0, off, s[60:63], 0 offset:536
	buffer_load_dword v1, off, s[60:63], 0 offset:540
	;; [unrolled: 5-line block ×6, first 2 shown]
	v_add_f64 v[8:9], v[128:129], v[8:9]
	v_mul_f64 v[128:129], v[205:206], s[42:43]
	v_add_f64 v[8:9], v[126:127], v[8:9]
	v_fma_f64 v[148:149], v[207:208], s[28:29], v[128:129]
	v_fma_f64 v[128:129], v[207:208], s[28:29], -v[128:129]
	v_add_f64 v[8:9], v[124:125], v[8:9]
	v_add_f64 v[8:9], v[122:123], v[8:9]
	;; [unrolled: 1-line block ×4, first 2 shown]
	s_waitcnt vmcnt(0)
	v_add_f64 v[130:131], v[130:131], v[0:1]
	s_clause 0x1
	buffer_load_dword v0, off, s[60:63], 0 offset:504
	buffer_load_dword v1, off, s[60:63], 0 offset:508
	s_waitcnt vmcnt(0)
	v_add_f64 v[132:133], v[132:133], v[0:1]
	s_clause 0x1
	buffer_load_dword v0, off, s[60:63], 0 offset:448
	buffer_load_dword v1, off, s[60:63], 0 offset:452
	;; [unrolled: 5-line block ×3, first 2 shown]
	v_add_f64 v[10:11], v[134:135], v[10:11]
	v_fma_f64 v[134:135], v[207:208], s[16:17], -v[110:111]
	v_fma_f64 v[110:111], v[207:208], s[16:17], v[110:111]
	s_waitcnt vmcnt(0)
	v_add_f64 v[136:137], v[136:137], v[0:1]
	s_clause 0x1
	buffer_load_dword v0, off, s[60:63], 0 offset:456
	buffer_load_dword v1, off, s[60:63], 0 offset:460
	s_waitcnt vmcnt(0)
	v_add_f64 v[138:139], v[138:139], v[0:1]
	s_clause 0x1
	buffer_load_dword v0, off, s[60:63], 0 offset:416
	buffer_load_dword v1, off, s[60:63], 0 offset:420
	v_add_f64 v[10:11], v[138:139], v[10:11]
	v_add_f64 v[10:11], v[136:137], v[10:11]
	;; [unrolled: 1-line block ×4, first 2 shown]
	s_waitcnt vmcnt(0)
	v_add_f64 v[140:141], v[0:1], -v[140:141]
	s_clause 0x1
	buffer_load_dword v0, off, s[60:63], 0 offset:368
	buffer_load_dword v1, off, s[60:63], 0 offset:372
	s_waitcnt vmcnt(0)
	v_add_f64 v[144:145], v[0:1], -v[144:145]
	s_clause 0x1
	buffer_load_dword v0, off, s[60:63], 0 offset:376
	buffer_load_dword v1, off, s[60:63], 0 offset:380
	v_add_f64 v[20:21], v[144:145], v[20:21]
	s_waitcnt vmcnt(0)
	v_add_f64 v[146:147], v[0:1], -v[146:147]
	s_clause 0x1
	buffer_load_dword v0, off, s[60:63], 0 offset:392
	buffer_load_dword v1, off, s[60:63], 0 offset:396
	v_add_f64 v[20:21], v[146:147], v[20:21]
	s_waitcnt vmcnt(0)
	v_add_f64 v[152:153], v[0:1], -v[152:153]
	s_clause 0x1
	buffer_load_dword v0, off, s[60:63], 0 offset:360
	buffer_load_dword v1, off, s[60:63], 0 offset:364
	v_add_f64 v[20:21], v[152:153], v[20:21]
	v_add_f64 v[18:19], v[140:141], v[20:21]
	s_waitcnt vmcnt(0)
	v_add_f64 v[154:155], v[154:155], v[0:1]
	s_clause 0x1
	buffer_load_dword v0, off, s[60:63], 0 offset:568
	buffer_load_dword v1, off, s[60:63], 0 offset:572
	v_add_f64 v[22:23], v[154:155], v[22:23]
	s_waitcnt vmcnt(0)
	v_add_f64 v[156:157], v[156:157], v[0:1]
	s_clause 0x1
	buffer_load_dword v0, off, s[60:63], 0 offset:512
	buffer_load_dword v1, off, s[60:63], 0 offset:516
	s_waitcnt vmcnt(0)
	v_add_f64 v[0:1], v[0:1], -v[158:159]
	buffer_store_dword v0, off, s[60:63], 0 offset:392 ; 4-byte Folded Spill
	buffer_store_dword v1, off, s[60:63], 0 offset:396 ; 4-byte Folded Spill
	s_clause 0x1
	buffer_load_dword v0, off, s[60:63], 0 offset:472
	buffer_load_dword v1, off, s[60:63], 0 offset:476
	s_waitcnt vmcnt(0)
	v_add_f64 v[160:161], v[160:161], v[0:1]
	s_clause 0x1
	buffer_load_dword v0, off, s[60:63], 0 offset:384
	buffer_load_dword v1, off, s[60:63], 0 offset:388
	s_waitcnt vmcnt(0)
	v_add_f64 v[162:163], v[162:163], v[0:1]
	s_clause 0x1
	buffer_load_dword v0, off, s[60:63], 0 offset:432
	buffer_load_dword v1, off, s[60:63], 0 offset:436
	v_add_f64 v[22:23], v[162:163], v[22:23]
	s_waitcnt vmcnt(0)
	v_add_f64 v[199:200], v[0:1], -v[199:200]
	s_clause 0x1
	buffer_load_dword v0, off, s[60:63], 0 offset:560
	buffer_load_dword v1, off, s[60:63], 0 offset:564
	s_waitcnt vmcnt(0)
	v_add_f64 v[0:1], v[201:202], v[0:1]
	buffer_store_dword v0, off, s[60:63], 0 offset:360 ; 4-byte Folded Spill
	buffer_store_dword v1, off, s[60:63], 0 offset:364 ; 4-byte Folded Spill
	s_clause 0x1
	buffer_load_dword v0, off, s[60:63], 0 offset:464
	buffer_load_dword v1, off, s[60:63], 0 offset:468
	s_waitcnt vmcnt(0)
	v_add_f64 v[0:1], v[203:204], v[0:1]
	buffer_store_dword v0, off, s[60:63], 0 offset:368 ; 4-byte Folded Spill
	buffer_store_dword v1, off, s[60:63], 0 offset:372 ; 4-byte Folded Spill
	s_clause 0x3
	buffer_load_dword v0, off, s[60:63], 0 offset:400
	buffer_load_dword v1, off, s[60:63], 0 offset:404
	;; [unrolled: 1-line block ×4, first 2 shown]
	v_mov_b32_e32 v204, v71
	v_mov_b32_e32 v203, v70
	;; [unrolled: 1-line block ×4, first 2 shown]
	v_fma_f64 v[70:71], v[195:196], s[38:39], v[197:198]
	v_fma_f64 v[68:69], v[195:196], s[38:39], -v[197:198]
	v_fma_f64 v[197:198], v[195:196], s[10:11], v[211:212]
	v_fma_f64 v[211:212], v[195:196], s[10:11], -v[211:212]
	v_add_f64 v[44:45], v[70:71], v[44:45]
	v_add_f64 v[50:51], v[68:69], v[50:51]
	v_mul_f64 v[70:71], v[221:222], s[2:3]
	v_add_f64 v[52:53], v[197:198], v[52:53]
	v_fma_f64 v[68:69], v[235:236], s[10:11], -v[60:61]
	v_fma_f64 v[60:61], v[235:236], s[10:11], v[60:61]
	v_add_f64 v[46:47], v[211:212], v[46:47]
	v_add_f64 v[44:45], v[110:111], v[44:45]
	;; [unrolled: 1-line block ×5, first 2 shown]
	s_waitcnt vmcnt(2)
	v_add_f64 v[215:216], v[215:216], v[0:1]
	v_mul_f64 v[0:1], v[229:230], s[48:49]
	v_add_f64 v[20:21], v[215:216], v[22:23]
	s_waitcnt vmcnt(0)
	v_add_f64 v[158:159], v[2:3], -v[0:1]
	s_clause 0x1
	buffer_load_dword v0, off, s[60:63], 0 offset:424
	buffer_load_dword v1, off, s[60:63], 0 offset:428
	v_mul_f64 v[2:3], v[237:238], s[46:47]
	v_mul_f64 v[22:23], v[225:226], s[50:51]
	v_fma_f64 v[32:33], v[217:218], s[26:27], v[22:23]
	v_fma_f64 v[22:23], v[217:218], s[26:27], -v[22:23]
	s_waitcnt vmcnt(0)
	v_add_f64 v[0:1], v[2:3], v[0:1]
	buffer_store_dword v0, off, s[60:63], 0 offset:376 ; 4-byte Folded Spill
	buffer_store_dword v1, off, s[60:63], 0 offset:380 ; 4-byte Folded Spill
	s_clause 0x1
	buffer_load_dword v0, off, s[60:63], 0 offset:408
	buffer_load_dword v1, off, s[60:63], 0 offset:412
	s_waitcnt vmcnt(0)
	v_add_f64 v[16:17], v[16:17], v[0:1]
	v_mov_b32_e32 v0, v100
	v_mov_b32_e32 v1, v101
	v_mov_b32_e32 v2, v102
	v_mov_b32_e32 v3, v103
	v_mov_b32_e32 v103, v95
	v_mov_b32_e32 v102, v94
	v_mov_b32_e32 v101, v93
	v_mov_b32_e32 v100, v92
	v_mov_b32_e32 v95, v75
	v_mov_b32_e32 v94, v74
	v_mov_b32_e32 v93, v73
	v_mov_b32_e32 v92, v72
	v_fma_f64 v[72:73], v[195:196], s[46:47], v[193:194]
	v_fma_f64 v[74:75], v[195:196], s[46:47], -v[193:194]
	v_mul_f64 v[193:194], v[227:228], s[58:59]
	v_mul_f64 v[195:196], v[227:228], s[40:41]
	;; [unrolled: 1-line block ×3, first 2 shown]
	v_add_f64 v[54:55], v[72:73], v[54:55]
	v_fma_f64 v[72:73], v[219:220], s[24:25], -v[28:29]
	v_fma_f64 v[76:77], v[209:210], s[16:17], v[193:194]
	v_fma_f64 v[78:79], v[209:210], s[16:17], -v[193:194]
	v_fma_f64 v[28:29], v[219:220], s[24:25], v[28:29]
	v_fma_f64 v[193:194], v[209:210], s[38:39], -v[195:196]
	v_fma_f64 v[82:83], v[209:210], s[28:29], v[227:228]
	v_fma_f64 v[195:196], v[209:210], s[38:39], v[195:196]
	v_fma_f64 v[80:81], v[209:210], s[28:29], -v[227:228]
	v_add_f64 v[48:49], v[74:75], v[48:49]
	v_fma_f64 v[74:75], v[219:220], s[16:17], v[66:67]
	v_fma_f64 v[66:67], v[219:220], s[16:17], -v[66:67]
	v_add_f64 v[54:55], v[148:149], v[54:55]
	v_add_f64 v[50:51], v[72:73], v[50:51]
	;; [unrolled: 1-line block ×6, first 2 shown]
	v_fma_f64 v[76:77], v[219:220], s[10:11], v[70:71]
	v_add_f64 v[36:37], v[82:83], v[36:37]
	v_add_f64 v[42:43], v[80:81], v[42:43]
	;; [unrolled: 1-line block ×3, first 2 shown]
	v_fma_f64 v[70:71], v[219:220], s[10:11], -v[70:71]
	v_add_f64 v[48:49], v[128:129], v[48:49]
	v_add_f64 v[52:53], v[74:75], v[52:53]
	;; [unrolled: 1-line block ×3, first 2 shown]
	v_mul_f64 v[66:67], v[229:230], s[22:23]
	v_mul_f64 v[72:73], v[213:214], s[36:37]
	v_add_f64 v[38:39], v[62:63], v[38:39]
	v_add_f64 v[24:25], v[56:57], v[24:25]
	v_mul_f64 v[62:63], v[12:13], s[2:3]
	v_add_f64 v[40:41], v[64:65], v[40:41]
	v_add_f64 v[44:45], v[76:77], v[54:55]
	;; [unrolled: 3-line block ×3, first 2 shown]
	v_mul_f64 v[68:69], v[229:230], s[8:9]
	v_add_f64 v[48:49], v[70:71], v[48:49]
	v_mul_f64 v[70:71], v[213:214], s[22:23]
	v_fma_f64 v[76:77], v[237:238], s[34:35], v[72:73]
	v_add_f64 v[34:35], v[34:35], v[38:39]
	v_mul_f64 v[38:39], v[231:232], s[48:49]
	v_add_f64 v[24:25], v[26:27], v[24:25]
	v_fma_f64 v[74:75], v[237:238], s[26:27], v[70:71]
	v_add_f64 v[32:33], v[32:33], v[34:35]
	v_fma_f64 v[26:27], v[233:234], s[46:47], v[38:39]
	v_fma_f64 v[54:55], v[233:234], s[46:47], -v[38:39]
	v_mul_f64 v[34:35], v[251:252], s[50:51]
	v_add_f64 v[22:23], v[22:23], v[24:25]
	v_fma_f64 v[24:25], v[239:240], s[24:25], -v[14:15]
	v_fma_f64 v[14:15], v[239:240], s[24:25], v[14:15]
	v_add_f64 v[26:27], v[26:27], v[28:29]
	v_mul_f64 v[28:29], v[243:244], s[44:45]
	v_add_f64 v[50:51], v[54:55], v[50:51]
	v_mul_f64 v[54:55], v[231:232], s[20:21]
	v_add_f64 v[24:25], v[24:25], v[42:43]
	v_fma_f64 v[38:39], v[239:240], s[34:35], -v[28:29]
	v_fma_f64 v[58:59], v[233:234], s[24:25], v[54:55]
	v_fma_f64 v[54:55], v[233:234], s[24:25], -v[54:55]
	v_add_f64 v[38:39], v[38:39], v[40:41]
	v_fma_f64 v[40:41], v[249:250], s[26:27], -v[34:35]
	v_add_f64 v[42:43], v[58:59], v[44:45]
	v_mul_f64 v[58:59], v[251:252], s[40:41]
	v_add_f64 v[48:49], v[54:55], v[48:49]
	v_mul_f64 v[54:55], v[12:13], s[30:31]
	v_mul_f64 v[12:13], v[12:13], s[36:37]
	v_add_f64 v[40:41], v[40:41], v[50:51]
	v_add_f64 v[50:51], v[156:157], v[6:7]
	v_add_f64 v[6:7], v[160:161], v[10:11]
	v_add_f64 v[10:11], v[199:200], v[18:19]
	v_fma_f64 v[18:19], v[239:240], s[34:35], v[28:29]
	v_add_f64 v[28:29], v[60:61], v[36:37]
	v_mul_f64 v[36:37], v[231:232], s[44:45]
	v_fma_f64 v[60:61], v[249:250], s[38:39], v[58:59]
	v_fma_f64 v[58:59], v[249:250], s[38:39], -v[58:59]
	v_add_f64 v[18:19], v[18:19], v[30:31]
	v_add_f64 v[14:15], v[14:15], v[28:29]
	v_fma_f64 v[56:57], v[233:234], s[34:35], v[36:37]
	v_fma_f64 v[36:37], v[233:234], s[34:35], -v[36:37]
	v_fma_f64 v[28:29], v[249:250], s[26:27], v[34:35]
	v_add_f64 v[42:43], v[60:61], v[42:43]
	v_fma_f64 v[60:61], v[223:224], s[28:29], -v[54:55]
	v_add_f64 v[48:49], v[58:59], v[48:49]
	v_mul_f64 v[58:59], v[213:214], s[8:9]
	v_add_f64 v[44:45], v[56:57], v[52:53]
	v_mul_f64 v[52:53], v[225:226], s[18:19]
	;; [unrolled: 2-line block ×3, first 2 shown]
	v_mul_f64 v[56:57], v[225:226], s[40:41]
	v_add_f64 v[26:27], v[28:29], v[26:27]
	v_mul_f64 v[28:29], v[253:254], s[36:37]
	v_fma_f64 v[30:31], v[217:218], s[24:25], -v[52:53]
	v_fma_f64 v[34:35], v[249:250], s[24:25], v[46:47]
	v_fma_f64 v[46:47], v[249:250], s[24:25], -v[46:47]
	v_add_f64 v[30:31], v[30:31], v[38:39]
	v_fma_f64 v[38:39], v[217:218], s[24:25], v[52:53]
	v_add_f64 v[34:35], v[34:35], v[44:45]
	v_fma_f64 v[52:53], v[217:218], s[38:39], -v[56:57]
	v_fma_f64 v[56:57], v[217:218], s[38:39], v[56:57]
	v_mul_f64 v[44:45], v[253:254], s[2:3]
	v_add_f64 v[36:37], v[46:47], v[36:37]
	v_fma_f64 v[46:47], v[223:224], s[34:35], -v[12:13]
	v_fma_f64 v[12:13], v[223:224], s[34:35], v[12:13]
	v_add_f64 v[30:31], v[60:61], v[30:31]
	v_fma_f64 v[60:61], v[245:246], s[28:29], v[64:65]
	v_add_f64 v[18:19], v[38:39], v[18:19]
	v_add_f64 v[24:25], v[52:53], v[24:25]
	v_fma_f64 v[52:53], v[223:224], s[10:11], -v[62:63]
	v_fma_f64 v[38:39], v[223:224], s[10:11], v[62:63]
	v_add_f64 v[14:15], v[56:57], v[14:15]
	v_fma_f64 v[62:63], v[245:246], s[28:29], -v[64:65]
	v_mul_f64 v[64:65], v[229:230], s[36:37]
	v_fma_f64 v[56:57], v[245:246], s[34:35], v[28:29]
	v_fma_f64 v[28:29], v[245:246], s[34:35], -v[28:29]
	v_add_f64 v[34:35], v[60:61], v[34:35]
	v_add_f64 v[60:61], v[16:17], v[20:21]
	s_clause 0x1
	buffer_load_dword v16, off, s[60:63], 0 offset:352
	buffer_load_dword v17, off, s[60:63], 0 offset:356
	v_add_f64 v[22:23], v[52:53], v[22:23]
	v_fma_f64 v[52:53], v[223:224], s[28:29], v[54:55]
	v_fma_f64 v[54:55], v[245:246], s[10:11], -v[44:45]
	v_fma_f64 v[44:45], v[245:246], s[10:11], v[44:45]
	v_add_f64 v[24:25], v[46:47], v[24:25]
	v_fma_f64 v[46:47], v[247:248], s[26:27], -v[66:67]
	v_add_f64 v[36:37], v[62:63], v[36:37]
	v_fma_f64 v[62:63], v[237:238], s[34:35], -v[72:73]
	v_add_f64 v[48:49], v[28:29], v[48:49]
	v_add_f64 v[42:43], v[56:57], v[42:43]
	v_fma_f64 v[56:57], v[247:248], s[16:17], -v[68:69]
	v_add_f64 v[32:33], v[38:39], v[32:33]
	v_fma_f64 v[38:39], v[237:238], s[16:17], v[58:59]
	v_fma_f64 v[68:69], v[247:248], s[16:17], v[68:69]
	v_fma_f64 v[58:59], v[237:238], s[16:17], -v[58:59]
	v_add_f64 v[52:53], v[52:53], v[18:19]
	v_add_f64 v[40:41], v[54:55], v[40:41]
	;; [unrolled: 1-line block ×3, first 2 shown]
	v_fma_f64 v[26:27], v[247:248], s[34:35], -v[64:65]
	v_fma_f64 v[54:55], v[247:248], s[34:35], v[64:65]
	v_fma_f64 v[64:65], v[247:248], s[26:27], v[66:67]
	v_fma_f64 v[66:67], v[237:238], s[26:27], -v[70:71]
	v_add_f64 v[70:71], v[12:13], v[14:15]
	v_add_f64 v[12:13], v[158:159], v[10:11]
	v_add_f64 v[18:19], v[74:75], v[34:35]
	v_mov_b32_e32 v72, v92
	v_mov_b32_e32 v73, v93
	;; [unrolled: 1-line block ×12, first 2 shown]
	v_add_f64 v[24:25], v[56:57], v[24:25]
	v_add_f64 v[20:21], v[46:47], v[30:31]
	;; [unrolled: 1-line block ×7, first 2 shown]
	v_mov_b32_e32 v64, v88
	v_mov_b32_e32 v65, v89
	;; [unrolled: 1-line block ×13, first 2 shown]
	v_add_f64 v[114:115], v[68:69], v[70:71]
	v_mov_b32_e32 v68, v201
	v_add_f64 v[112:113], v[58:59], v[48:49]
	v_mov_b32_e32 v105, v169
	v_mov_b32_e32 v106, v170
	;; [unrolled: 1-line block ×6, first 2 shown]
	s_waitcnt vmcnt(0)
	v_add_f64 v[4:5], v[16:17], v[4:5]
	s_clause 0x3
	buffer_load_dword v16, off, s[60:63], 0 offset:392
	buffer_load_dword v17, off, s[60:63], 0 offset:396
	;; [unrolled: 1-line block ×4, first 2 shown]
	s_waitcnt vmcnt(2)
	v_add_f64 v[8:9], v[16:17], v[8:9]
	s_waitcnt vmcnt(0)
	v_add_f64 v[28:29], v[10:11], v[86:87]
	s_clause 0x3
	buffer_load_dword v10, off, s[60:63], 0 offset:28
	buffer_load_dword v11, off, s[60:63], 0 offset:32
	;; [unrolled: 1-line block ×4, first 2 shown]
	v_add_f64 v[16:17], v[26:27], v[22:23]
	v_add_f64 v[22:23], v[38:39], v[42:43]
	s_waitcnt vmcnt(2)
	v_add_f64 v[26:27], v[10:11], v[84:85]
	s_waitcnt vmcnt(0)
	v_add_f64 v[10:11], v[0:1], v[60:61]
	s_clause 0x1
	buffer_load_dword v0, off, s[60:63], 0 offset:368
	buffer_load_dword v1, off, s[60:63], 0 offset:372
	s_waitcnt vmcnt(0)
	v_add_f64 v[6:7], v[0:1], v[6:7]
	s_clause 0x1
	buffer_load_dword v0, off, s[60:63], 0 offset:360
	buffer_load_dword v1, off, s[60:63], 0 offset:364
	s_waitcnt vmcnt(0)
	v_add_f64 v[2:3], v[0:1], v[50:51]
	buffer_load_dword v1, off, s[60:63], 0 offset:252 ; 4-byte Folded Reload
	v_mov_b32_e32 v0, 4
	s_waitcnt vmcnt(0)
	v_lshlrev_b32_sdwa v0, v0, v1 dst_sel:DWORD dst_unused:UNUSED_PAD src0_sel:DWORD src1_sel:WORD_0
	ds_write_b128 v0, v[26:29]
	ds_write_b128 v0, v[22:25] offset:16
	ds_write_b128 v0, v[18:21] offset:32
	;; [unrolled: 1-line block ×16, first 2 shown]
.LBB0_17:
	s_or_b32 exec_lo, exec_lo, s1
	s_waitcnt lgkmcnt(0)
	s_waitcnt_vscnt null, 0x0
	s_barrier
	buffer_gl0_inv
	ds_read_b128 v[0:3], v255
	ds_read_b128 v[116:119], v255 offset:3536
	ds_read_b128 v[112:115], v255 offset:7072
	;; [unrolled: 1-line block ×6, first 2 shown]
	s_and_saveexec_b32 s1, s0
	s_cbranch_execz .LBB0_19
; %bb.18:
	ds_read_b128 v[68:71], v255 offset:1904
	ds_read_b128 v[184:187], v255 offset:5440
	ds_read_b128 v[188:191], v255 offset:8976
	ds_read_b128 v[180:183], v255 offset:12512
	ds_read_b128 v[176:179], v255 offset:16048
	ds_read_b128 v[172:175], v255 offset:19584
	ds_read_b128 v[164:167], v255 offset:23120
.LBB0_19:
	s_or_b32 exec_lo, exec_lo, s1
	s_clause 0x3
	buffer_load_dword v36, off, s[60:63], 0 offset:236
	buffer_load_dword v37, off, s[60:63], 0 offset:240
	;; [unrolled: 1-line block ×4, first 2 shown]
	s_waitcnt lgkmcnt(5)
	v_mul_f64 v[12:13], v[106:107], v[118:119]
	v_mul_f64 v[14:15], v[106:107], v[116:117]
	s_waitcnt lgkmcnt(4)
	v_mul_f64 v[16:17], v[98:99], v[114:115]
	v_mul_f64 v[18:19], v[98:99], v[112:113]
	;; [unrolled: 3-line block ×3, first 2 shown]
	v_mul_f64 v[28:29], v[90:91], v[10:11]
	v_mul_f64 v[30:31], v[90:91], v[8:9]
	;; [unrolled: 1-line block ×4, first 2 shown]
	s_mov_b32 s10, 0x37e14327
	s_mov_b32 s18, 0xe976ee23
	;; [unrolled: 1-line block ×12, first 2 shown]
	v_fma_f64 v[12:13], v[104:105], v[116:117], v[12:13]
	v_fma_f64 v[14:15], v[104:105], v[118:119], -v[14:15]
	v_fma_f64 v[16:17], v[96:97], v[112:113], v[16:17]
	v_fma_f64 v[18:19], v[96:97], v[114:115], -v[18:19]
	;; [unrolled: 2-line block ×5, first 2 shown]
	s_mov_b32 s25, 0xbfd5d0dc
	s_mov_b32 s21, 0x3fe77f67
	;; [unrolled: 1-line block ×8, first 2 shown]
	s_waitcnt vmcnt(0) lgkmcnt(0)
	s_barrier
	buffer_gl0_inv
	v_add_f64 v[32:33], v[16:17], v[24:25]
	v_add_f64 v[34:35], v[18:19], v[26:27]
	v_add_f64 v[16:17], v[16:17], -v[24:25]
	v_add_f64 v[18:19], v[18:19], -v[26:27]
	v_add_f64 v[24:25], v[8:9], v[4:5]
	v_add_f64 v[26:27], v[10:11], v[6:7]
	v_add_f64 v[4:5], v[4:5], -v[8:9]
	v_add_f64 v[6:7], v[6:7], -v[10:11]
	v_mul_f64 v[20:21], v[38:39], v[122:123]
	v_mul_f64 v[22:23], v[38:39], v[120:121]
	v_add_f64 v[38:39], v[6:7], -v[18:19]
	v_fma_f64 v[20:21], v[36:37], v[120:121], v[20:21]
	v_fma_f64 v[22:23], v[36:37], v[122:123], -v[22:23]
	v_add_f64 v[36:37], v[4:5], -v[16:17]
	v_mul_f64 v[38:39], v[38:39], s[18:19]
	v_add_f64 v[28:29], v[12:13], v[20:21]
	v_add_f64 v[30:31], v[14:15], v[22:23]
	v_add_f64 v[8:9], v[12:13], -v[20:21]
	v_add_f64 v[10:11], v[14:15], -v[22:23]
	v_mul_f64 v[36:37], v[36:37], s[18:19]
	v_add_f64 v[12:13], v[32:33], v[28:29]
	v_add_f64 v[14:15], v[34:35], v[30:31]
	v_add_f64 v[20:21], v[28:29], -v[24:25]
	v_add_f64 v[22:23], v[30:31], -v[26:27]
	;; [unrolled: 1-line block ×4, first 2 shown]
	v_add_f64 v[16:17], v[4:5], v[16:17]
	v_add_f64 v[18:19], v[6:7], v[18:19]
	v_add_f64 v[4:5], v[8:9], -v[4:5]
	v_add_f64 v[6:7], v[10:11], -v[6:7]
	;; [unrolled: 1-line block ×4, first 2 shown]
	v_add_f64 v[12:13], v[24:25], v[12:13]
	v_add_f64 v[14:15], v[26:27], v[14:15]
	v_add_f64 v[24:25], v[24:25], -v[32:33]
	v_add_f64 v[26:27], v[26:27], -v[34:35]
	v_mul_f64 v[20:21], v[20:21], s[10:11]
	v_mul_f64 v[22:23], v[22:23], s[10:11]
	;; [unrolled: 1-line block ×4, first 2 shown]
	v_add_f64 v[8:9], v[16:17], v[8:9]
	v_add_f64 v[10:11], v[18:19], v[10:11]
	;; [unrolled: 1-line block ×4, first 2 shown]
	v_mul_f64 v[32:33], v[24:25], s[8:9]
	v_mul_f64 v[34:35], v[26:27], s[8:9]
	v_fma_f64 v[16:17], v[24:25], s[8:9], v[20:21]
	v_fma_f64 v[18:19], v[26:27], s[8:9], v[22:23]
	;; [unrolled: 1-line block ×4, first 2 shown]
	v_fma_f64 v[36:37], v[40:41], s[2:3], -v[36:37]
	v_fma_f64 v[38:39], v[42:43], s[2:3], -v[38:39]
	;; [unrolled: 1-line block ×6, first 2 shown]
	v_fma_f64 v[12:13], v[12:13], s[16:17], v[0:1]
	v_fma_f64 v[14:15], v[14:15], s[16:17], v[2:3]
	v_fma_f64 v[28:29], v[28:29], s[20:21], -v[32:33]
	v_fma_f64 v[30:31], v[30:31], s[20:21], -v[34:35]
	v_fma_f64 v[32:33], v[8:9], s[28:29], v[24:25]
	v_fma_f64 v[24:25], v[10:11], s[28:29], v[26:27]
	;; [unrolled: 1-line block ×6, first 2 shown]
	v_add_f64 v[40:41], v[16:17], v[12:13]
	v_add_f64 v[42:43], v[18:19], v[14:15]
	;; [unrolled: 1-line block ×7, first 2 shown]
	v_add_f64 v[6:7], v[42:43], -v[32:33]
	v_add_f64 v[8:9], v[38:39], v[20:21]
	v_add_f64 v[10:11], v[22:23], -v[36:37]
	v_add_f64 v[12:13], v[16:17], -v[34:35]
	v_add_f64 v[14:15], v[26:27], v[18:19]
	v_add_f64 v[16:17], v[34:35], v[16:17]
	v_add_f64 v[18:19], v[18:19], -v[26:27]
	v_add_f64 v[20:21], v[20:21], -v[38:39]
	v_add_f64 v[22:23], v[36:37], v[22:23]
	v_add_f64 v[24:25], v[40:41], -v[24:25]
	v_add_f64 v[26:27], v[32:33], v[42:43]
	ds_write_b128 v192, v[0:3]
	ds_write_b128 v192, v[4:7] offset:272
	ds_write_b128 v192, v[8:11] offset:544
	;; [unrolled: 1-line block ×6, first 2 shown]
	s_and_saveexec_b32 s1, s0
	s_cbranch_execz .LBB0_21
; %bb.20:
	s_clause 0xf
	buffer_load_dword v32, off, s[60:63], 0 offset:288
	buffer_load_dword v33, off, s[60:63], 0 offset:292
	;; [unrolled: 1-line block ×16, first 2 shown]
	s_waitcnt vmcnt(12)
	v_mul_f64 v[0:1], v[34:35], v[164:165]
	v_mul_f64 v[10:11], v[34:35], v[166:167]
	s_clause 0x7
	buffer_load_dword v34, off, s[60:63], 0 offset:304
	buffer_load_dword v35, off, s[60:63], 0 offset:308
	;; [unrolled: 1-line block ×8, first 2 shown]
	s_waitcnt vmcnt(16)
	v_mul_f64 v[2:3], v[30:31], v[184:185]
	s_waitcnt vmcnt(12)
	v_mul_f64 v[4:5], v[44:45], v[172:173]
	;; [unrolled: 2-line block ×3, first 2 shown]
	v_mul_f64 v[8:9], v[30:31], v[186:187]
	v_mul_f64 v[12:13], v[26:27], v[190:191]
	v_mul_f64 v[14:15], v[44:45], v[174:175]
	v_fma_f64 v[0:1], v[32:33], v[166:167], -v[0:1]
	v_fma_f64 v[10:11], v[32:33], v[164:165], v[10:11]
	v_fma_f64 v[2:3], v[28:29], v[186:187], -v[2:3]
	v_fma_f64 v[4:5], v[42:43], v[174:175], -v[4:5]
	;; [unrolled: 1-line block ×3, first 2 shown]
	v_fma_f64 v[8:9], v[28:29], v[184:185], v[8:9]
	v_fma_f64 v[12:13], v[24:25], v[188:189], v[12:13]
	;; [unrolled: 1-line block ×3, first 2 shown]
	v_add_f64 v[24:25], v[2:3], v[0:1]
	v_add_f64 v[26:27], v[6:7], v[4:5]
	;; [unrolled: 1-line block ×3, first 2 shown]
	v_add_f64 v[8:9], v[8:9], -v[10:11]
	v_add_f64 v[30:31], v[12:13], v[14:15]
	v_add_f64 v[12:13], v[12:13], -v[14:15]
	v_add_f64 v[4:5], v[6:7], -v[4:5]
	;; [unrolled: 1-line block ×3, first 2 shown]
	v_add_f64 v[10:11], v[26:27], v[24:25]
	v_add_f64 v[0:1], v[30:31], v[28:29]
	s_waitcnt vmcnt(4)
	v_mul_f64 v[16:17], v[36:37], v[178:179]
	s_waitcnt vmcnt(0)
	v_mul_f64 v[18:19], v[40:41], v[182:183]
	v_mul_f64 v[20:21], v[40:41], v[180:181]
	;; [unrolled: 1-line block ×3, first 2 shown]
	v_fma_f64 v[16:17], v[34:35], v[176:177], v[16:17]
	v_fma_f64 v[18:19], v[38:39], v[180:181], v[18:19]
	v_fma_f64 v[20:21], v[38:39], v[182:183], -v[20:21]
	v_fma_f64 v[22:23], v[34:35], v[178:179], -v[22:23]
	v_add_f64 v[34:35], v[12:13], -v[8:9]
	v_add_f64 v[38:39], v[4:5], -v[6:7]
	;; [unrolled: 1-line block ×3, first 2 shown]
	v_add_f64 v[16:17], v[18:19], v[16:17]
	v_add_f64 v[14:15], v[20:21], v[22:23]
	v_add_f64 v[18:19], v[22:23], -v[20:21]
	v_mul_f64 v[44:45], v[34:35], s[2:3]
	v_mul_f64 v[46:47], v[38:39], s[2:3]
	v_add_f64 v[2:3], v[32:33], -v[12:13]
	v_add_f64 v[22:23], v[28:29], -v[16:17]
	v_add_f64 v[20:21], v[24:25], -v[14:15]
	v_add_f64 v[10:11], v[14:15], v[10:11]
	v_add_f64 v[14:15], v[14:15], -v[26:27]
	v_add_f64 v[36:37], v[18:19], -v[4:5]
	v_add_f64 v[40:41], v[16:17], v[0:1]
	v_add_f64 v[16:17], v[16:17], -v[30:31]
	v_add_f64 v[42:43], v[8:9], -v[32:33]
	v_add_f64 v[12:13], v[32:33], v[12:13]
	v_add_f64 v[4:5], v[18:19], v[4:5]
	v_add_f64 v[18:19], v[6:7], -v[18:19]
	v_add_f64 v[24:25], v[26:27], -v[24:25]
	v_add_f64 v[28:29], v[30:31], -v[28:29]
	v_mul_f64 v[32:33], v[2:3], s[18:19]
	v_mul_f64 v[22:23], v[22:23], s[10:11]
	;; [unrolled: 1-line block ×3, first 2 shown]
	v_add_f64 v[2:3], v[70:71], v[10:11]
	v_mul_f64 v[26:27], v[14:15], s[8:9]
	v_mul_f64 v[36:37], v[36:37], s[18:19]
	v_add_f64 v[0:1], v[68:69], v[40:41]
	v_mul_f64 v[30:31], v[16:17], s[8:9]
	v_add_f64 v[8:9], v[12:13], v[8:9]
	v_add_f64 v[4:5], v[4:5], v[6:7]
	v_fma_f64 v[6:7], v[42:43], s[24:25], v[32:33]
	v_fma_f64 v[32:33], v[34:35], s[2:3], -v[32:33]
	v_fma_f64 v[12:13], v[14:15], s[8:9], v[20:21]
	v_fma_f64 v[14:15], v[16:17], s[8:9], v[22:23]
	v_fma_f64 v[16:17], v[42:43], s[26:27], -v[44:45]
	v_fma_f64 v[10:11], v[10:11], s[16:17], v[2:3]
	v_fma_f64 v[20:21], v[24:25], s[22:23], -v[20:21]
	v_fma_f64 v[24:25], v[24:25], s[20:21], -v[26:27]
	v_fma_f64 v[26:27], v[18:19], s[24:25], v[36:37]
	v_fma_f64 v[18:19], v[18:19], s[26:27], -v[46:47]
	;; [unrolled: 3-line block ×3, first 2 shown]
	v_fma_f64 v[28:29], v[28:29], s[20:21], -v[30:31]
	v_fma_f64 v[30:31], v[8:9], s[28:29], v[6:7]
	v_fma_f64 v[16:17], v[8:9], s[28:29], v[16:17]
	;; [unrolled: 1-line block ×3, first 2 shown]
	v_add_f64 v[12:13], v[12:13], v[10:11]
	v_add_f64 v[20:21], v[20:21], v[10:11]
	v_fma_f64 v[32:33], v[4:5], s[28:29], v[26:27]
	v_fma_f64 v[38:39], v[4:5], s[28:29], v[18:19]
	;; [unrolled: 1-line block ×3, first 2 shown]
	v_add_f64 v[24:25], v[24:25], v[10:11]
	v_add_f64 v[40:41], v[22:23], v[36:37]
	;; [unrolled: 1-line block ×6, first 2 shown]
	v_add_f64 v[22:23], v[20:21], -v[16:17]
	v_add_f64 v[26:27], v[12:13], -v[30:31]
	;; [unrolled: 1-line block ×3, first 2 shown]
	v_add_f64 v[18:19], v[8:9], v[24:25]
	v_add_f64 v[16:17], v[28:29], -v[4:5]
	v_add_f64 v[12:13], v[4:5], v[28:29]
	buffer_load_dword v29, off, s[60:63], 0 offset:60 ; 4-byte Folded Reload
	v_mov_b32_e32 v28, 0x77
	v_add_f64 v[24:25], v[32:33], v[34:35]
	v_add_f64 v[20:21], v[38:39], v[40:41]
	v_add_f64 v[8:9], v[40:41], -v[38:39]
	v_add_f64 v[4:5], v[34:35], -v[32:33]
	s_waitcnt vmcnt(0)
	v_mul_u32_u24_sdwa v28, v29, v28 dst_sel:DWORD dst_unused:UNUSED_PAD src0_sel:WORD_0 src1_sel:DWORD
	buffer_load_dword v29, off, s[60:63], 0 offset:68 ; 4-byte Folded Reload
	s_waitcnt vmcnt(0)
	v_add_lshl_u32 v28, v28, v29, 4
	ds_write_b128 v28, v[0:3]
	ds_write_b128 v28, v[24:27] offset:272
	ds_write_b128 v28, v[20:23] offset:544
	;; [unrolled: 1-line block ×6, first 2 shown]
.LBB0_21:
	s_or_b32 exec_lo, exec_lo, s1
	s_waitcnt lgkmcnt(0)
	s_barrier
	buffer_gl0_inv
	ds_read_b128 v[4:7], v255 offset:1904
	ds_read_b128 v[0:3], v255
	ds_read_b128 v[8:11], v255 offset:3808
	ds_read_b128 v[12:15], v255 offset:5712
	;; [unrolled: 1-line block ×11, first 2 shown]
	s_clause 0x7
	buffer_load_dword v100, off, s[60:63], 0 offset:76
	buffer_load_dword v101, off, s[60:63], 0 offset:80
	;; [unrolled: 1-line block ×8, first 2 shown]
	s_mov_b32 s2, 0x4267c47c
	s_mov_b32 s3, 0xbfddbe06
	;; [unrolled: 1-line block ×5, first 2 shown]
	s_waitcnt lgkmcnt(12)
	v_mul_f64 v[36:37], v[66:67], v[6:7]
	v_mul_f64 v[38:39], v[66:67], v[4:5]
	s_waitcnt lgkmcnt(10)
	v_mul_f64 v[40:41], v[74:75], v[10:11]
	v_mul_f64 v[42:43], v[74:75], v[8:9]
	s_mov_b32 s20, 0x66966769
	s_mov_b32 s22, 0xebaa3ed8
	;; [unrolled: 1-line block ×18, first 2 shown]
	v_fma_f64 v[36:37], v[64:65], v[4:5], v[36:37]
	v_fma_f64 v[6:7], v[64:65], v[6:7], -v[38:39]
	v_fma_f64 v[40:41], v[72:73], v[8:9], v[40:41]
	v_fma_f64 v[42:43], v[72:73], v[10:11], -v[42:43]
	s_mov_b32 s43, 0xbfef11f4
	s_mov_b32 s1, 0x3fddbe06
	;; [unrolled: 1-line block ×13, first 2 shown]
	v_add_f64 v[8:9], v[0:1], v[36:37]
	v_add_f64 v[10:11], v[2:3], v[6:7]
	s_waitcnt vmcnt(4) lgkmcnt(0)
	v_mul_f64 v[4:5], v[102:103], v[96:97]
	s_waitcnt vmcnt(0)
	v_mul_f64 v[38:39], v[108:109], v[14:15]
	v_mul_f64 v[44:45], v[108:109], v[12:13]
	;; [unrolled: 1-line block ×3, first 2 shown]
	s_clause 0xf
	buffer_load_dword v102, off, s[60:63], 0 offset:92
	buffer_load_dword v103, off, s[60:63], 0 offset:96
	;; [unrolled: 1-line block ×16, first 2 shown]
	v_fma_f64 v[74:75], v[100:101], v[98:99], -v[4:5]
	v_fma_f64 v[12:13], v[106:107], v[12:13], v[38:39]
	v_fma_f64 v[14:15], v[106:107], v[14:15], -v[44:45]
	v_fma_f64 v[38:39], v[100:101], v[96:97], v[46:47]
	v_add_f64 v[44:45], v[8:9], v[40:41]
	v_add_f64 v[46:47], v[10:11], v[42:43]
	s_waitcnt vmcnt(12)
	v_mul_f64 v[48:49], v[104:105], v[18:19]
	s_waitcnt vmcnt(8)
	v_mul_f64 v[50:51], v[110:111], v[94:95]
	v_mul_f64 v[52:53], v[110:111], v[92:93]
	s_waitcnt vmcnt(0)
	v_mul_f64 v[58:59], v[124:125], v[90:91]
	v_mul_f64 v[60:61], v[124:125], v[88:89]
	s_clause 0xf
	buffer_load_dword v124, off, s[60:63], 0 offset:204
	buffer_load_dword v125, off, s[60:63], 0 offset:208
	;; [unrolled: 1-line block ×16, first 2 shown]
	v_mul_f64 v[54:55], v[104:105], v[16:17]
	v_mul_f64 v[56:57], v[120:121], v[22:23]
	;; [unrolled: 1-line block ×3, first 2 shown]
	v_fma_f64 v[16:17], v[102:103], v[16:17], v[48:49]
	v_fma_f64 v[50:51], v[108:109], v[92:93], v[50:51]
	v_fma_f64 v[52:53], v[108:109], v[94:95], -v[52:53]
	v_fma_f64 v[48:49], v[122:123], v[88:89], v[58:59]
	v_fma_f64 v[18:19], v[102:103], v[18:19], -v[54:55]
	;; [unrolled: 2-line block ×3, first 2 shown]
	v_fma_f64 v[54:55], v[122:123], v[90:91], -v[60:61]
	v_add_f64 v[60:61], v[42:43], v[52:53]
	v_add_f64 v[42:43], v[42:43], -v[52:53]
	v_add_f64 v[62:63], v[12:13], v[48:49]
	v_mul_f64 v[94:95], v[60:61], s[18:19]
	v_mul_f64 v[92:93], v[42:43], s[16:17]
	;; [unrolled: 1-line block ×10, first 2 shown]
	s_waitcnt vmcnt(12)
	v_mul_f64 v[64:65], v[126:127], v[26:27]
	s_waitcnt vmcnt(8)
	v_mul_f64 v[68:69], v[130:131], v[84:85]
	;; [unrolled: 2-line block ×4, first 2 shown]
	v_mul_f64 v[66:67], v[130:131], v[86:87]
	v_mul_f64 v[70:71], v[126:127], v[24:25]
	;; [unrolled: 1-line block ×4, first 2 shown]
	v_fma_f64 v[4:5], v[124:125], v[24:25], v[64:65]
	v_fma_f64 v[58:59], v[128:129], v[86:87], -v[68:69]
	v_fma_f64 v[10:11], v[114:115], v[30:31], -v[76:77]
	v_fma_f64 v[30:31], v[110:111], v[34:35], -v[80:81]
	v_add_f64 v[34:35], v[44:45], v[12:13]
	v_add_f64 v[44:45], v[46:47], v[14:15]
	v_fma_f64 v[56:57], v[128:129], v[84:85], v[66:67]
	v_fma_f64 v[8:9], v[124:125], v[26:27], -v[70:71]
	v_add_f64 v[24:25], v[6:7], -v[74:75]
	v_add_f64 v[26:27], v[6:7], v[74:75]
	v_fma_f64 v[6:7], v[114:115], v[28:29], v[72:73]
	v_fma_f64 v[28:29], v[110:111], v[32:33], v[78:79]
	v_add_f64 v[32:33], v[36:37], v[38:39]
	v_add_f64 v[36:37], v[36:37], -v[38:39]
	v_add_f64 v[46:47], v[40:41], v[50:51]
	v_add_f64 v[64:65], v[14:15], v[54:55]
	v_add_f64 v[14:15], v[14:15], -v[54:55]
	v_add_f64 v[40:41], v[40:41], -v[50:51]
	v_mul_f64 v[110:111], v[60:61], s[22:23]
	v_mul_f64 v[60:61], v[60:61], s[8:9]
	v_add_f64 v[12:13], v[12:13], -v[48:49]
	v_add_f64 v[68:69], v[18:19], v[58:59]
	v_add_f64 v[72:73], v[18:19], -v[58:59]
	v_add_f64 v[18:19], v[44:45], v[18:19]
	v_add_f64 v[66:67], v[16:17], v[56:57]
	v_add_f64 v[70:71], v[16:17], -v[56:57]
	v_add_f64 v[16:17], v[34:35], v[16:17]
	v_mul_f64 v[76:77], v[24:25], s[2:3]
	v_mul_f64 v[78:79], v[26:27], s[8:9]
	;; [unrolled: 1-line block ×18, first 2 shown]
	v_add_f64 v[18:19], v[18:19], v[22:23]
	v_mul_f64 v[130:131], v[64:65], s[18:19]
	v_fma_f64 v[162:163], v[46:47], s[28:29], v[96:97]
	v_add_f64 v[16:17], v[16:17], v[20:21]
	v_fma_f64 v[138:139], v[32:33], s[8:9], v[76:77]
	v_fma_f64 v[140:141], v[36:37], s[0:1], v[78:79]
	v_fma_f64 v[76:77], v[32:33], s[8:9], -v[76:77]
	v_fma_f64 v[78:79], v[36:37], s[2:3], v[78:79]
	v_fma_f64 v[142:143], v[32:33], s[18:19], v[80:81]
	v_fma_f64 v[144:145], v[36:37], s[10:11], v[82:83]
	v_fma_f64 v[80:81], v[32:33], s[18:19], -v[80:81]
	v_fma_f64 v[82:83], v[36:37], s[16:17], v[82:83]
	;; [unrolled: 4-line block ×3, first 2 shown]
	v_fma_f64 v[150:151], v[32:33], s[28:29], v[88:89]
	v_fma_f64 v[88:89], v[32:33], s[28:29], -v[88:89]
	v_fma_f64 v[156:157], v[36:37], s[40:41], v[90:91]
	v_fma_f64 v[152:153], v[36:37], s[34:35], v[34:35]
	;; [unrolled: 1-line block ×3, first 2 shown]
	v_fma_f64 v[44:45], v[32:33], s[38:39], -v[44:45]
	v_add_f64 v[18:19], v[18:19], v[8:9]
	v_fma_f64 v[90:91], v[36:37], s[30:31], v[90:91]
	v_fma_f64 v[158:159], v[32:33], s[42:43], v[24:25]
	v_add_f64 v[16:17], v[16:17], v[4:5]
	v_fma_f64 v[160:161], v[36:37], s[44:45], v[26:27]
	v_fma_f64 v[24:25], v[32:33], s[42:43], -v[24:25]
	v_fma_f64 v[34:35], v[36:37], s[26:27], v[34:35]
	v_fma_f64 v[26:27], v[36:37], s[36:37], v[26:27]
	;; [unrolled: 1-line block ×3, first 2 shown]
	v_add_f64 v[138:139], v[0:1], v[138:139]
	v_fma_f64 v[36:37], v[40:41], s[10:11], v[94:95]
	v_fma_f64 v[92:93], v[46:47], s[18:19], -v[92:93]
	v_fma_f64 v[94:95], v[40:41], s[16:17], v[94:95]
	v_fma_f64 v[164:165], v[40:41], s[34:35], v[98:99]
	v_fma_f64 v[96:97], v[46:47], s[28:29], -v[96:97]
	v_fma_f64 v[98:99], v[40:41], s[26:27], v[98:99]
	v_fma_f64 v[166:167], v[46:47], s[42:43], v[100:101]
	;; [unrolled: 1-line block ×3, first 2 shown]
	v_fma_f64 v[100:101], v[46:47], s[42:43], -v[100:101]
	v_fma_f64 v[102:103], v[40:41], s[36:37], v[102:103]
	v_fma_f64 v[170:171], v[46:47], s[38:39], v[104:105]
	v_fma_f64 v[104:105], v[46:47], s[38:39], -v[104:105]
	v_add_f64 v[18:19], v[18:19], v[10:11]
	v_fma_f64 v[176:177], v[40:41], s[20:21], v[110:111]
	v_add_f64 v[140:141], v[2:3], v[140:141]
	v_add_f64 v[16:17], v[16:17], v[6:7]
	;; [unrolled: 1-line block ×13, first 2 shown]
	v_mul_f64 v[116:117], v[14:15], s[36:37]
	v_mul_f64 v[126:127], v[64:65], s[8:9]
	v_mul_f64 v[128:129], v[14:15], s[16:17]
	v_mul_f64 v[14:15], v[14:15], s[30:31]
	v_mul_f64 v[64:65], v[64:65], s[38:39]
	v_fma_f64 v[172:173], v[40:41], s[30:31], v[106:107]
	v_fma_f64 v[178:179], v[46:47], s[8:9], v[42:43]
	v_add_f64 v[18:19], v[18:19], v[30:31]
	v_fma_f64 v[180:181], v[40:41], s[2:3], v[60:61]
	v_fma_f64 v[42:43], v[46:47], s[8:9], -v[42:43]
	v_add_f64 v[16:17], v[16:17], v[28:29]
	v_add_f64 v[142:143], v[0:1], v[142:143]
	;; [unrolled: 1-line block ×6, first 2 shown]
	v_mul_f64 v[132:133], v[72:73], s[26:27]
	v_fma_f64 v[106:107], v[40:41], s[40:41], v[106:107]
	v_fma_f64 v[174:175], v[46:47], s[22:23], v[108:109]
	v_fma_f64 v[108:109], v[46:47], s[22:23], -v[108:109]
	v_fma_f64 v[110:111], v[40:41], s[24:25], v[110:111]
	v_fma_f64 v[40:41], v[40:41], s[0:1], v[60:61]
	;; [unrolled: 1-line block ×3, first 2 shown]
	v_add_f64 v[34:35], v[2:3], v[34:35]
	v_mul_f64 v[134:135], v[68:69], s[28:29]
	v_fma_f64 v[60:61], v[12:13], s[24:25], v[114:115]
	v_fma_f64 v[112:113], v[62:63], s[22:23], -v[112:113]
	v_fma_f64 v[184:185], v[12:13], s[44:45], v[118:119]
	v_fma_f64 v[118:119], v[12:13], s[36:37], v[118:119]
	v_add_f64 v[18:19], v[18:19], v[58:59]
	v_fma_f64 v[186:187], v[62:63], s[28:29], v[120:121]
	v_fma_f64 v[188:189], v[12:13], s[26:27], v[122:123]
	v_add_f64 v[16:17], v[16:17], v[56:57]
	v_fma_f64 v[120:121], v[62:63], s[28:29], -v[120:121]
	v_fma_f64 v[122:123], v[12:13], s[34:35], v[122:123]
	v_fma_f64 v[190:191], v[62:63], s[8:9], v[124:125]
	;; [unrolled: 1-line block ×3, first 2 shown]
	v_add_f64 v[80:81], v[96:97], v[80:81]
	v_add_f64 v[82:83], v[98:99], v[82:83]
	;; [unrolled: 1-line block ×5, first 2 shown]
	v_mul_f64 v[136:137], v[72:73], s[40:41]
	v_fma_f64 v[114:115], v[12:13], s[20:21], v[114:115]
	v_fma_f64 v[182:183], v[62:63], s[42:43], v[116:117]
	v_fma_f64 v[116:117], v[62:63], s[42:43], -v[116:117]
	v_fma_f64 v[192:193], v[12:13], s[2:3], v[126:127]
	v_fma_f64 v[56:57], v[62:63], s[38:39], v[14:15]
	v_fma_f64 v[58:59], v[12:13], s[40:41], v[64:65]
	v_add_f64 v[98:99], v[172:173], v[152:153]
	v_fma_f64 v[14:15], v[62:63], s[38:39], -v[14:15]
	v_add_f64 v[18:19], v[18:19], v[54:55]
	v_add_f64 v[54:55], v[0:1], v[158:159]
	;; [unrolled: 1-line block ×15, first 2 shown]
	v_fma_f64 v[124:125], v[62:63], s[8:9], -v[124:125]
	v_fma_f64 v[126:127], v[12:13], s[0:1], v[126:127]
	v_fma_f64 v[194:195], v[62:63], s[18:19], v[128:129]
	v_fma_f64 v[128:129], v[62:63], s[18:19], -v[128:129]
	v_fma_f64 v[130:131], v[12:13], s[16:17], v[130:131]
	v_mul_f64 v[62:63], v[68:69], s[38:39]
	v_fma_f64 v[12:13], v[12:13], s[30:31], v[64:65]
	v_add_f64 v[18:19], v[18:19], v[52:53]
	v_add_f64 v[54:55], v[178:179], v[54:55]
	;; [unrolled: 1-line block ×14, first 2 shown]
	v_mul_f64 v[94:95], v[72:73], s[0:1]
	v_add_f64 v[36:37], v[114:115], v[36:37]
	v_add_f64 v[46:47], v[182:183], v[76:77]
	;; [unrolled: 1-line block ×5, first 2 shown]
	v_fma_f64 v[92:93], v[70:71], s[26:27], v[134:135]
	v_mul_f64 v[98:99], v[68:69], s[22:23]
	v_add_f64 v[2:3], v[18:19], v[74:75]
	v_fma_f64 v[74:75], v[66:67], s[28:29], v[132:133]
	v_add_f64 v[18:19], v[122:123], v[86:87]
	v_add_f64 v[0:1], v[16:17], v[38:39]
	;; [unrolled: 1-line block ×4, first 2 shown]
	v_fma_f64 v[84:85], v[70:71], s[34:35], v[134:135]
	v_add_f64 v[86:87], v[196:197], v[88:89]
	v_fma_f64 v[88:89], v[66:67], s[28:29], -v[132:133]
	v_mul_f64 v[96:97], v[68:69], s[8:9]
	v_add_f64 v[54:55], v[56:57], v[54:55]
	v_add_f64 v[56:57], v[58:59], v[90:91]
	v_fma_f64 v[58:59], v[66:67], s[38:39], v[136:137]
	v_mul_f64 v[90:91], v[72:73], s[20:21]
	v_add_f64 v[14:15], v[14:15], v[42:43]
	v_add_f64 v[42:43], v[22:23], -v[30:31]
	v_add_f64 v[22:23], v[22:23], v[30:31]
	v_add_f64 v[44:45], v[108:109], v[44:45]
	;; [unrolled: 1-line block ×3, first 2 shown]
	v_fma_f64 v[100:101], v[70:71], s[30:31], v[62:63]
	v_add_f64 v[12:13], v[12:13], v[40:41]
	v_mul_f64 v[30:31], v[72:73], s[44:45]
	v_fma_f64 v[40:41], v[66:67], s[38:39], -v[136:137]
	v_add_f64 v[24:25], v[74:75], v[24:25]
	v_mul_f64 v[74:75], v[68:69], s[42:43]
	v_fma_f64 v[62:63], v[70:71], s[40:41], v[62:63]
	v_mul_f64 v[72:73], v[72:73], s[10:11]
	v_add_f64 v[36:37], v[92:93], v[36:37]
	v_add_f64 v[26:27], v[84:85], v[26:27]
	v_fma_f64 v[84:85], v[66:67], s[8:9], v[94:95]
	v_add_f64 v[32:33], v[88:89], v[32:33]
	v_fma_f64 v[88:89], v[70:71], s[2:3], v[96:97]
	v_fma_f64 v[92:93], v[66:67], s[8:9], -v[94:95]
	v_fma_f64 v[94:95], v[70:71], s[0:1], v[96:97]
	v_mul_f64 v[68:69], v[68:69], s[18:19]
	v_add_f64 v[46:47], v[58:59], v[46:47]
	v_fma_f64 v[58:59], v[66:67], s[22:23], v[90:91]
	v_fma_f64 v[96:97], v[70:71], s[24:25], v[98:99]
	v_add_f64 v[102:103], v[20:21], v[28:29]
	v_mul_f64 v[104:105], v[42:43], s[30:31]
	v_add_f64 v[20:21], v[20:21], -v[28:29]
	v_mul_f64 v[28:29], v[22:23], s[38:39]
	v_add_f64 v[50:51], v[124:125], v[50:51]
	v_fma_f64 v[90:91], v[66:67], s[22:23], -v[90:91]
	v_add_f64 v[44:45], v[128:129], v[44:45]
	v_add_f64 v[48:49], v[130:131], v[48:49]
	;; [unrolled: 1-line block ×3, first 2 shown]
	v_fma_f64 v[100:101], v[66:67], s[42:43], v[30:31]
	v_add_f64 v[40:41], v[40:41], v[76:77]
	v_fma_f64 v[76:77], v[70:71], s[36:37], v[74:75]
	v_fma_f64 v[30:31], v[66:67], s[42:43], -v[30:31]
	v_fma_f64 v[74:75], v[70:71], s[44:45], v[74:75]
	v_add_f64 v[34:35], v[106:107], v[34:35]
	v_add_f64 v[52:53], v[174:175], v[154:155]
	;; [unrolled: 1-line block ×5, first 2 shown]
	v_fma_f64 v[82:83], v[66:67], s[18:19], v[72:73]
	v_fma_f64 v[66:67], v[66:67], s[18:19], -v[72:73]
	v_fma_f64 v[98:99], v[70:71], s[20:21], v[98:99]
	v_fma_f64 v[84:85], v[70:71], s[16:17], v[68:69]
	v_fma_f64 v[68:69], v[70:71], s[10:11], v[68:69]
	v_add_f64 v[38:39], v[58:59], v[38:39]
	v_add_f64 v[58:59], v[96:97], v[64:65]
	v_fma_f64 v[64:65], v[102:103], s[38:39], v[104:105]
	v_mul_f64 v[70:71], v[42:43], s[24:25]
	v_mul_f64 v[72:73], v[22:23], s[22:23]
	v_fma_f64 v[88:89], v[20:21], s[40:41], v[28:29]
	v_add_f64 v[50:51], v[90:91], v[50:51]
	v_mul_f64 v[90:91], v[42:43], s[16:17]
	v_add_f64 v[16:17], v[92:93], v[16:17]
	v_mul_f64 v[92:93], v[22:23], s[18:19]
	v_add_f64 v[76:77], v[76:77], v[86:87]
	v_add_f64 v[30:31], v[30:31], v[44:45]
	;; [unrolled: 1-line block ×3, first 2 shown]
	v_fma_f64 v[48:49], v[102:103], s[38:39], -v[104:105]
	v_mul_f64 v[74:75], v[42:43], s[44:45]
	v_mul_f64 v[86:87], v[22:23], s[42:43]
	v_fma_f64 v[28:29], v[20:21], s[30:31], v[28:29]
	v_add_f64 v[34:35], v[126:127], v[34:35]
	v_add_f64 v[52:53], v[194:195], v[52:53]
	;; [unrolled: 1-line block ×3, first 2 shown]
	v_add_f64 v[66:67], v[8:9], -v[10:11]
	v_add_f64 v[8:9], v[8:9], v[10:11]
	v_add_f64 v[12:13], v[68:69], v[12:13]
	;; [unrolled: 1-line block ×4, first 2 shown]
	v_fma_f64 v[24:25], v[102:103], s[22:23], v[70:71]
	v_fma_f64 v[64:65], v[20:21], s[20:21], v[72:73]
	v_fma_f64 v[68:69], v[102:103], s[22:23], -v[70:71]
	v_fma_f64 v[70:71], v[20:21], s[24:25], v[72:73]
	v_mul_f64 v[72:73], v[42:43], s[0:1]
	v_add_f64 v[26:27], v[88:89], v[26:27]
	v_mul_f64 v[88:89], v[22:23], s[8:9]
	v_fma_f64 v[82:83], v[102:103], s[18:19], v[90:91]
	v_fma_f64 v[90:91], v[102:103], s[18:19], -v[90:91]
	v_add_f64 v[18:19], v[94:95], v[18:19]
	v_add_f64 v[56:57], v[84:85], v[56:57]
	v_fma_f64 v[84:85], v[20:21], s[10:11], v[92:93]
	v_add_f64 v[32:33], v[48:49], v[32:33]
	v_fma_f64 v[48:49], v[102:103], s[42:43], v[74:75]
	v_fma_f64 v[94:95], v[20:21], s[36:37], v[86:87]
	v_add_f64 v[96:97], v[28:29], v[36:37]
	v_mul_f64 v[28:29], v[42:43], s[26:27]
	v_mul_f64 v[22:23], v[22:23], s[28:29]
	v_add_f64 v[34:35], v[98:99], v[34:35]
	v_add_f64 v[52:53], v[100:101], v[52:53]
	;; [unrolled: 1-line block ×3, first 2 shown]
	v_add_f64 v[42:43], v[4:5], -v[6:7]
	v_mul_f64 v[98:99], v[66:67], s[36:37]
	v_mul_f64 v[100:101], v[8:9], s[42:43]
	v_add_f64 v[24:25], v[24:25], v[46:47]
	v_add_f64 v[46:47], v[64:65], v[60:61]
	;; [unrolled: 1-line block ×3, first 2 shown]
	v_fma_f64 v[62:63], v[102:103], s[8:9], v[72:73]
	v_fma_f64 v[92:93], v[20:21], s[16:17], v[92:93]
	;; [unrolled: 1-line block ×3, first 2 shown]
	v_fma_f64 v[4:5], v[102:103], s[42:43], -v[74:75]
	v_add_f64 v[74:75], v[90:91], v[16:17]
	v_fma_f64 v[16:17], v[102:103], s[8:9], -v[72:73]
	v_fma_f64 v[6:7], v[20:21], s[44:45], v[86:87]
	v_add_f64 v[40:41], v[68:69], v[40:41]
	v_add_f64 v[64:65], v[82:83], v[78:79]
	;; [unrolled: 1-line block ×5, first 2 shown]
	v_fma_f64 v[58:59], v[20:21], s[0:1], v[88:89]
	v_fma_f64 v[72:73], v[102:103], s[28:29], v[28:29]
	;; [unrolled: 1-line block ×3, first 2 shown]
	v_fma_f64 v[28:29], v[102:103], s[28:29], -v[28:29]
	v_fma_f64 v[20:21], v[20:21], s[26:27], v[22:23]
	v_mul_f64 v[82:83], v[66:67], s[0:1]
	v_mul_f64 v[84:85], v[8:9], s[8:9]
	v_fma_f64 v[22:23], v[36:37], s[42:43], v[98:99]
	v_fma_f64 v[80:81], v[42:43], s[44:45], v[100:101]
	v_mul_f64 v[86:87], v[66:67], s[30:31]
	v_mul_f64 v[88:89], v[8:9], s[38:39]
	v_add_f64 v[52:53], v[62:63], v[52:53]
	v_mul_f64 v[62:63], v[66:67], s[10:11]
	v_mul_f64 v[90:91], v[8:9], s[18:19]
	v_add_f64 v[18:19], v[92:93], v[18:19]
	v_add_f64 v[70:71], v[70:71], v[76:77]
	v_mul_f64 v[76:77], v[66:67], s[26:27]
	v_mul_f64 v[92:93], v[8:9], s[28:29]
	v_add_f64 v[94:95], v[16:17], v[30:31]
	v_mul_f64 v[16:17], v[66:67], s[24:25]
	v_mul_f64 v[8:9], v[8:9], s[22:23]
	v_add_f64 v[50:51], v[4:5], v[50:51]
	v_add_f64 v[58:59], v[58:59], v[44:45]
	;; [unrolled: 1-line block ×6, first 2 shown]
	v_fma_f64 v[12:13], v[36:37], s[8:9], v[82:83]
	v_fma_f64 v[14:15], v[42:43], s[2:3], v[84:85]
	v_add_f64 v[34:35], v[6:7], v[34:35]
	v_add_f64 v[4:5], v[22:23], v[10:11]
	;; [unrolled: 1-line block ×3, first 2 shown]
	v_fma_f64 v[20:21], v[36:37], s[8:9], -v[82:83]
	v_fma_f64 v[22:23], v[36:37], s[38:39], v[86:87]
	v_fma_f64 v[26:27], v[42:43], s[40:41], v[88:89]
	v_fma_f64 v[28:29], v[36:37], s[38:39], -v[86:87]
	v_fma_f64 v[30:31], v[36:37], s[18:19], v[62:63]
	v_fma_f64 v[72:73], v[42:43], s[16:17], v[90:91]
	;; [unrolled: 1-line block ×4, first 2 shown]
	v_fma_f64 v[10:11], v[36:37], s[42:43], -v[98:99]
	v_fma_f64 v[82:83], v[36:37], s[22:23], v[16:17]
	v_fma_f64 v[86:87], v[42:43], s[20:21], v[8:9]
	v_fma_f64 v[62:63], v[36:37], s[18:19], -v[62:63]
	v_fma_f64 v[98:99], v[36:37], s[22:23], -v[16:17]
	v_fma_f64 v[102:103], v[42:43], s[24:25], v[8:9]
	v_fma_f64 v[76:77], v[36:37], s[28:29], -v[76:77]
	v_fma_f64 v[92:93], v[42:43], s[26:27], v[92:93]
	v_fma_f64 v[90:91], v[42:43], s[10:11], v[90:91]
	;; [unrolled: 1-line block ×5, first 2 shown]
	v_add_f64 v[12:13], v[12:13], v[24:25]
	v_add_f64 v[14:15], v[14:15], v[46:47]
	;; [unrolled: 1-line block ×22, first 2 shown]
	ds_write_b128 v255, v[0:3]
	ds_write_b128 v255, v[4:7] offset:1904
	ds_write_b128 v255, v[12:15] offset:3808
	;; [unrolled: 1-line block ×12, first 2 shown]
	s_waitcnt lgkmcnt(0)
	s_barrier
	buffer_gl0_inv
	s_and_b32 exec_lo, exec_lo, vcc_lo
	s_cbranch_execz .LBB0_23
; %bb.22:
	global_load_dwordx4 v[0:3], v255, s[12:13]
	ds_read_b128 v[4:7], v255
	ds_read_b128 v[8:11], v255 offset:1456
	ds_read_b128 v[12:15], v255 offset:23296
	s_clause 0x2
	buffer_load_dword v18, off, s[60:63], 0
	buffer_load_dword v19, off, s[60:63], 0 offset:4
	buffer_load_dword v21, off, s[60:63], 0 offset:8
	s_mov_b32 s0, 0x152e8015
	s_mov_b32 s1, 0x3f452e80
	v_add_co_u32 v22, s2, s12, v255
	v_add_co_ci_u32_e64 v23, null, s13, 0, s2
	s_mul_i32 s2, s5, 0x5b0
	s_mul_i32 s3, s4, 0x5b0
	s_waitcnt vmcnt(3) lgkmcnt(2)
	v_mul_f64 v[16:17], v[6:7], v[2:3]
	v_mul_f64 v[2:3], v[4:5], v[2:3]
	s_waitcnt vmcnt(2)
	v_mov_b32_e32 v20, v18
	s_waitcnt vmcnt(1)
	v_mad_u64_u32 v[18:19], null, s6, v20, 0
	v_fma_f64 v[4:5], v[4:5], v[0:1], v[16:17]
	v_fma_f64 v[2:3], v[0:1], v[6:7], -v[2:3]
	s_waitcnt vmcnt(0)
	v_mad_u64_u32 v[6:7], null, s4, v21, 0
	v_mov_b32_e32 v0, v19
	v_mov_b32_e32 v1, v7
	v_mad_u64_u32 v[16:17], null, s7, v20, v[0:1]
	v_mov_b32_e32 v19, v16
	v_mad_u64_u32 v[20:21], null, s5, v21, v[1:2]
	v_mul_f64 v[0:1], v[4:5], s[0:1]
	v_mul_f64 v[2:3], v[2:3], s[0:1]
	v_lshlrev_b64 v[4:5], 4, v[18:19]
	s_mul_hi_u32 s5, s4, 0x5b0
	s_add_i32 s2, s5, s2
	v_mov_b32_e32 v7, v20
	v_add_co_u32 v4, vcc_lo, s14, v4
	v_add_co_ci_u32_e32 v5, vcc_lo, s15, v5, vcc_lo
	v_lshlrev_b64 v[6:7], 4, v[6:7]
	v_add_co_u32 v4, vcc_lo, v4, v6
	v_add_co_ci_u32_e32 v5, vcc_lo, v5, v7, vcc_lo
	v_add_co_u32 v16, vcc_lo, v4, s3
	global_store_dwordx4 v[4:5], v[0:3], off
	global_load_dwordx4 v[0:3], v255, s[12:13] offset:1456
	v_add_co_ci_u32_e32 v17, vcc_lo, s2, v5, vcc_lo
	v_add_co_u32 v4, vcc_lo, 0x800, v22
	v_add_co_ci_u32_e32 v5, vcc_lo, 0, v23, vcc_lo
	s_waitcnt vmcnt(0) lgkmcnt(1)
	v_mul_f64 v[6:7], v[10:11], v[2:3]
	v_mul_f64 v[2:3], v[8:9], v[2:3]
	v_fma_f64 v[6:7], v[8:9], v[0:1], v[6:7]
	v_fma_f64 v[2:3], v[0:1], v[10:11], -v[2:3]
	v_mul_f64 v[0:1], v[6:7], s[0:1]
	v_mul_f64 v[2:3], v[2:3], s[0:1]
	global_store_dwordx4 v[16:17], v[0:3], off
	global_load_dwordx4 v[0:3], v[4:5], off offset:864
	ds_read_b128 v[4:7], v255 offset:2912
	ds_read_b128 v[8:11], v255 offset:4368
	s_waitcnt vmcnt(0) lgkmcnt(1)
	v_mul_f64 v[18:19], v[6:7], v[2:3]
	v_mul_f64 v[2:3], v[4:5], v[2:3]
	v_fma_f64 v[4:5], v[4:5], v[0:1], v[18:19]
	v_fma_f64 v[2:3], v[0:1], v[6:7], -v[2:3]
	v_mul_f64 v[0:1], v[4:5], s[0:1]
	v_mul_f64 v[2:3], v[2:3], s[0:1]
	v_add_co_u32 v4, vcc_lo, v16, s3
	v_add_co_ci_u32_e32 v5, vcc_lo, s2, v17, vcc_lo
	v_add_co_u32 v6, vcc_lo, 0x1000, v22
	v_add_co_ci_u32_e32 v7, vcc_lo, 0, v23, vcc_lo
	global_store_dwordx4 v[4:5], v[0:3], off
	global_load_dwordx4 v[0:3], v[6:7], off offset:272
	s_waitcnt vmcnt(0) lgkmcnt(0)
	v_mul_f64 v[16:17], v[10:11], v[2:3]
	v_mul_f64 v[2:3], v[8:9], v[2:3]
	v_fma_f64 v[8:9], v[8:9], v[0:1], v[16:17]
	v_fma_f64 v[2:3], v[0:1], v[10:11], -v[2:3]
	v_add_co_u32 v16, vcc_lo, v4, s3
	v_add_co_ci_u32_e32 v17, vcc_lo, s2, v5, vcc_lo
	v_mul_f64 v[0:1], v[8:9], s[0:1]
	v_mul_f64 v[2:3], v[2:3], s[0:1]
	global_store_dwordx4 v[16:17], v[0:3], off
	global_load_dwordx4 v[0:3], v[6:7], off offset:1728
	ds_read_b128 v[4:7], v255 offset:5824
	ds_read_b128 v[8:11], v255 offset:7280
	s_waitcnt vmcnt(0) lgkmcnt(1)
	v_mul_f64 v[18:19], v[6:7], v[2:3]
	v_mul_f64 v[2:3], v[4:5], v[2:3]
	v_fma_f64 v[4:5], v[4:5], v[0:1], v[18:19]
	v_fma_f64 v[2:3], v[0:1], v[6:7], -v[2:3]
	v_mul_f64 v[0:1], v[4:5], s[0:1]
	v_mul_f64 v[2:3], v[2:3], s[0:1]
	v_add_co_u32 v4, vcc_lo, v16, s3
	v_add_co_ci_u32_e32 v5, vcc_lo, s2, v17, vcc_lo
	v_add_co_u32 v6, vcc_lo, 0x1800, v22
	v_add_co_ci_u32_e32 v7, vcc_lo, 0, v23, vcc_lo
	;; [unrolled: 2-line block ×4, first 2 shown]
	global_store_dwordx4 v[4:5], v[0:3], off
	global_load_dwordx4 v[0:3], v[6:7], off offset:1136
	s_waitcnt vmcnt(0) lgkmcnt(0)
	v_mul_f64 v[6:7], v[10:11], v[2:3]
	v_mul_f64 v[2:3], v[8:9], v[2:3]
	v_fma_f64 v[6:7], v[8:9], v[0:1], v[6:7]
	v_fma_f64 v[2:3], v[0:1], v[10:11], -v[2:3]
	v_mul_f64 v[0:1], v[6:7], s[0:1]
	v_mul_f64 v[2:3], v[2:3], s[0:1]
	global_store_dwordx4 v[16:17], v[0:3], off
	global_load_dwordx4 v[0:3], v[18:19], off offset:544
	ds_read_b128 v[4:7], v255 offset:8736
	ds_read_b128 v[8:11], v255 offset:10192
	s_waitcnt vmcnt(0) lgkmcnt(1)
	v_mul_f64 v[20:21], v[6:7], v[2:3]
	v_mul_f64 v[2:3], v[4:5], v[2:3]
	v_fma_f64 v[4:5], v[4:5], v[0:1], v[20:21]
	v_fma_f64 v[2:3], v[0:1], v[6:7], -v[2:3]
	v_mul_f64 v[0:1], v[4:5], s[0:1]
	v_mul_f64 v[2:3], v[2:3], s[0:1]
	v_add_co_u32 v4, vcc_lo, v16, s3
	v_add_co_ci_u32_e32 v5, vcc_lo, s2, v17, vcc_lo
	v_add_co_u32 v16, vcc_lo, v4, s3
	v_add_co_ci_u32_e32 v17, vcc_lo, s2, v5, vcc_lo
	global_store_dwordx4 v[4:5], v[0:3], off
	global_load_dwordx4 v[0:3], v[18:19], off offset:2000
	v_add_co_u32 v4, vcc_lo, 0x2800, v22
	v_add_co_ci_u32_e32 v5, vcc_lo, 0, v23, vcc_lo
	s_waitcnt vmcnt(0) lgkmcnt(0)
	v_mul_f64 v[6:7], v[10:11], v[2:3]
	v_mul_f64 v[2:3], v[8:9], v[2:3]
	v_fma_f64 v[6:7], v[8:9], v[0:1], v[6:7]
	v_fma_f64 v[2:3], v[0:1], v[10:11], -v[2:3]
	v_mul_f64 v[0:1], v[6:7], s[0:1]
	v_mul_f64 v[2:3], v[2:3], s[0:1]
	global_store_dwordx4 v[16:17], v[0:3], off
	global_load_dwordx4 v[0:3], v[4:5], off offset:1408
	ds_read_b128 v[4:7], v255 offset:11648
	ds_read_b128 v[8:11], v255 offset:13104
	s_waitcnt vmcnt(0) lgkmcnt(1)
	v_mul_f64 v[18:19], v[6:7], v[2:3]
	v_mul_f64 v[2:3], v[4:5], v[2:3]
	v_fma_f64 v[4:5], v[4:5], v[0:1], v[18:19]
	v_fma_f64 v[2:3], v[0:1], v[6:7], -v[2:3]
	v_mul_f64 v[0:1], v[4:5], s[0:1]
	v_mul_f64 v[2:3], v[2:3], s[0:1]
	v_add_co_u32 v4, vcc_lo, v16, s3
	v_add_co_ci_u32_e32 v5, vcc_lo, s2, v17, vcc_lo
	v_add_co_u32 v6, vcc_lo, 0x3000, v22
	v_add_co_ci_u32_e32 v7, vcc_lo, 0, v23, vcc_lo
	;; [unrolled: 2-line block ×4, first 2 shown]
	global_store_dwordx4 v[4:5], v[0:3], off
	global_load_dwordx4 v[0:3], v[6:7], off offset:816
	s_waitcnt vmcnt(0) lgkmcnt(0)
	v_mul_f64 v[6:7], v[10:11], v[2:3]
	v_mul_f64 v[2:3], v[8:9], v[2:3]
	v_fma_f64 v[6:7], v[8:9], v[0:1], v[6:7]
	v_fma_f64 v[2:3], v[0:1], v[10:11], -v[2:3]
	v_mul_f64 v[0:1], v[6:7], s[0:1]
	v_mul_f64 v[2:3], v[2:3], s[0:1]
	global_store_dwordx4 v[16:17], v[0:3], off
	global_load_dwordx4 v[0:3], v[18:19], off offset:224
	ds_read_b128 v[4:7], v255 offset:14560
	ds_read_b128 v[8:11], v255 offset:16016
	s_waitcnt vmcnt(0) lgkmcnt(1)
	v_mul_f64 v[20:21], v[6:7], v[2:3]
	v_mul_f64 v[2:3], v[4:5], v[2:3]
	v_fma_f64 v[4:5], v[4:5], v[0:1], v[20:21]
	v_fma_f64 v[2:3], v[0:1], v[6:7], -v[2:3]
	v_mul_f64 v[0:1], v[4:5], s[0:1]
	v_mul_f64 v[2:3], v[2:3], s[0:1]
	v_add_co_u32 v4, vcc_lo, v16, s3
	v_add_co_ci_u32_e32 v5, vcc_lo, s2, v17, vcc_lo
	v_add_co_u32 v16, vcc_lo, v4, s3
	v_add_co_ci_u32_e32 v17, vcc_lo, s2, v5, vcc_lo
	global_store_dwordx4 v[4:5], v[0:3], off
	global_load_dwordx4 v[0:3], v[18:19], off offset:1680
	v_add_co_u32 v4, vcc_lo, 0x4000, v22
	v_add_co_ci_u32_e32 v5, vcc_lo, 0, v23, vcc_lo
	s_waitcnt vmcnt(0) lgkmcnt(0)
	v_mul_f64 v[6:7], v[10:11], v[2:3]
	v_mul_f64 v[2:3], v[8:9], v[2:3]
	v_fma_f64 v[6:7], v[8:9], v[0:1], v[6:7]
	v_fma_f64 v[2:3], v[0:1], v[10:11], -v[2:3]
	v_mul_f64 v[0:1], v[6:7], s[0:1]
	v_mul_f64 v[2:3], v[2:3], s[0:1]
	global_store_dwordx4 v[16:17], v[0:3], off
	global_load_dwordx4 v[0:3], v[4:5], off offset:1088
	ds_read_b128 v[4:7], v255 offset:17472
	ds_read_b128 v[8:11], v255 offset:18928
	s_waitcnt vmcnt(0) lgkmcnt(1)
	v_mul_f64 v[18:19], v[6:7], v[2:3]
	v_mul_f64 v[2:3], v[4:5], v[2:3]
	v_fma_f64 v[4:5], v[4:5], v[0:1], v[18:19]
	v_fma_f64 v[2:3], v[0:1], v[6:7], -v[2:3]
	v_mul_f64 v[0:1], v[4:5], s[0:1]
	v_mul_f64 v[2:3], v[2:3], s[0:1]
	v_add_co_u32 v4, vcc_lo, v16, s3
	v_add_co_ci_u32_e32 v5, vcc_lo, s2, v17, vcc_lo
	v_add_co_u32 v6, vcc_lo, 0x4800, v22
	v_add_co_ci_u32_e32 v7, vcc_lo, 0, v23, vcc_lo
	global_store_dwordx4 v[4:5], v[0:3], off
	global_load_dwordx4 v[0:3], v[6:7], off offset:496
	s_waitcnt vmcnt(0) lgkmcnt(0)
	v_mul_f64 v[16:17], v[10:11], v[2:3]
	v_mul_f64 v[2:3], v[8:9], v[2:3]
	v_fma_f64 v[8:9], v[8:9], v[0:1], v[16:17]
	v_fma_f64 v[2:3], v[0:1], v[10:11], -v[2:3]
	v_add_co_u32 v16, vcc_lo, v4, s3
	v_add_co_ci_u32_e32 v17, vcc_lo, s2, v5, vcc_lo
	v_mul_f64 v[0:1], v[8:9], s[0:1]
	v_mul_f64 v[2:3], v[2:3], s[0:1]
	global_store_dwordx4 v[16:17], v[0:3], off
	global_load_dwordx4 v[0:3], v[6:7], off offset:1952
	ds_read_b128 v[4:7], v255 offset:20384
	ds_read_b128 v[8:11], v255 offset:21840
	s_waitcnt vmcnt(0) lgkmcnt(1)
	v_mul_f64 v[18:19], v[6:7], v[2:3]
	v_mul_f64 v[2:3], v[4:5], v[2:3]
	v_fma_f64 v[4:5], v[4:5], v[0:1], v[18:19]
	v_fma_f64 v[2:3], v[0:1], v[6:7], -v[2:3]
	v_mul_f64 v[0:1], v[4:5], s[0:1]
	v_mul_f64 v[2:3], v[2:3], s[0:1]
	v_add_co_u32 v4, vcc_lo, v16, s3
	v_add_co_ci_u32_e32 v5, vcc_lo, s2, v17, vcc_lo
	v_add_co_u32 v6, vcc_lo, 0x5000, v22
	v_add_co_ci_u32_e32 v7, vcc_lo, 0, v23, vcc_lo
	global_store_dwordx4 v[4:5], v[0:3], off
	global_load_dwordx4 v[0:3], v[6:7], off offset:1360
	v_add_co_u32 v4, vcc_lo, v4, s3
	v_add_co_ci_u32_e32 v5, vcc_lo, s2, v5, vcc_lo
	s_waitcnt vmcnt(0) lgkmcnt(0)
	v_mul_f64 v[6:7], v[10:11], v[2:3]
	v_mul_f64 v[2:3], v[8:9], v[2:3]
	v_fma_f64 v[6:7], v[8:9], v[0:1], v[6:7]
	v_fma_f64 v[2:3], v[0:1], v[10:11], -v[2:3]
	v_mul_f64 v[0:1], v[6:7], s[0:1]
	v_mul_f64 v[2:3], v[2:3], s[0:1]
	v_add_co_u32 v6, vcc_lo, 0x5800, v22
	v_add_co_ci_u32_e32 v7, vcc_lo, 0, v23, vcc_lo
	global_store_dwordx4 v[4:5], v[0:3], off
	global_load_dwordx4 v[0:3], v[6:7], off offset:768
	v_add_co_u32 v4, vcc_lo, v4, s3
	v_add_co_ci_u32_e32 v5, vcc_lo, s2, v5, vcc_lo
	s_waitcnt vmcnt(0)
	v_mul_f64 v[6:7], v[14:15], v[2:3]
	v_mul_f64 v[2:3], v[12:13], v[2:3]
	v_fma_f64 v[6:7], v[12:13], v[0:1], v[6:7]
	v_fma_f64 v[2:3], v[0:1], v[14:15], -v[2:3]
	v_mul_f64 v[0:1], v[6:7], s[0:1]
	v_mul_f64 v[2:3], v[2:3], s[0:1]
	global_store_dwordx4 v[4:5], v[0:3], off
.LBB0_23:
	s_endpgm
	.section	.rodata,"a",@progbits
	.p2align	6, 0x0
	.amdhsa_kernel bluestein_single_fwd_len1547_dim1_dp_op_CI_CI
		.amdhsa_group_segment_fixed_size 24752
		.amdhsa_private_segment_fixed_size 692
		.amdhsa_kernarg_size 104
		.amdhsa_user_sgpr_count 6
		.amdhsa_user_sgpr_private_segment_buffer 1
		.amdhsa_user_sgpr_dispatch_ptr 0
		.amdhsa_user_sgpr_queue_ptr 0
		.amdhsa_user_sgpr_kernarg_segment_ptr 1
		.amdhsa_user_sgpr_dispatch_id 0
		.amdhsa_user_sgpr_flat_scratch_init 0
		.amdhsa_user_sgpr_private_segment_size 0
		.amdhsa_wavefront_size32 1
		.amdhsa_uses_dynamic_stack 0
		.amdhsa_system_sgpr_private_segment_wavefront_offset 1
		.amdhsa_system_sgpr_workgroup_id_x 1
		.amdhsa_system_sgpr_workgroup_id_y 0
		.amdhsa_system_sgpr_workgroup_id_z 0
		.amdhsa_system_sgpr_workgroup_info 0
		.amdhsa_system_vgpr_workitem_id 0
		.amdhsa_next_free_vgpr 256
		.amdhsa_next_free_sgpr 64
		.amdhsa_reserve_vcc 1
		.amdhsa_reserve_flat_scratch 0
		.amdhsa_float_round_mode_32 0
		.amdhsa_float_round_mode_16_64 0
		.amdhsa_float_denorm_mode_32 3
		.amdhsa_float_denorm_mode_16_64 3
		.amdhsa_dx10_clamp 1
		.amdhsa_ieee_mode 1
		.amdhsa_fp16_overflow 0
		.amdhsa_workgroup_processor_mode 1
		.amdhsa_memory_ordered 1
		.amdhsa_forward_progress 0
		.amdhsa_shared_vgpr_count 0
		.amdhsa_exception_fp_ieee_invalid_op 0
		.amdhsa_exception_fp_denorm_src 0
		.amdhsa_exception_fp_ieee_div_zero 0
		.amdhsa_exception_fp_ieee_overflow 0
		.amdhsa_exception_fp_ieee_underflow 0
		.amdhsa_exception_fp_ieee_inexact 0
		.amdhsa_exception_int_div_zero 0
	.end_amdhsa_kernel
	.text
.Lfunc_end0:
	.size	bluestein_single_fwd_len1547_dim1_dp_op_CI_CI, .Lfunc_end0-bluestein_single_fwd_len1547_dim1_dp_op_CI_CI
                                        ; -- End function
	.section	.AMDGPU.csdata,"",@progbits
; Kernel info:
; codeLenInByte = 38004
; NumSgprs: 66
; NumVgprs: 256
; ScratchSize: 692
; MemoryBound: 0
; FloatMode: 240
; IeeeMode: 1
; LDSByteSize: 24752 bytes/workgroup (compile time only)
; SGPRBlocks: 8
; VGPRBlocks: 31
; NumSGPRsForWavesPerEU: 66
; NumVGPRsForWavesPerEU: 256
; Occupancy: 4
; WaveLimiterHint : 1
; COMPUTE_PGM_RSRC2:SCRATCH_EN: 1
; COMPUTE_PGM_RSRC2:USER_SGPR: 6
; COMPUTE_PGM_RSRC2:TRAP_HANDLER: 0
; COMPUTE_PGM_RSRC2:TGID_X_EN: 1
; COMPUTE_PGM_RSRC2:TGID_Y_EN: 0
; COMPUTE_PGM_RSRC2:TGID_Z_EN: 0
; COMPUTE_PGM_RSRC2:TIDIG_COMP_CNT: 0
	.text
	.p2alignl 6, 3214868480
	.fill 48, 4, 3214868480
	.type	__hip_cuid_a6a2b52d1dfa91d5,@object ; @__hip_cuid_a6a2b52d1dfa91d5
	.section	.bss,"aw",@nobits
	.globl	__hip_cuid_a6a2b52d1dfa91d5
__hip_cuid_a6a2b52d1dfa91d5:
	.byte	0                               ; 0x0
	.size	__hip_cuid_a6a2b52d1dfa91d5, 1

	.ident	"AMD clang version 19.0.0git (https://github.com/RadeonOpenCompute/llvm-project roc-6.4.0 25133 c7fe45cf4b819c5991fe208aaa96edf142730f1d)"
	.section	".note.GNU-stack","",@progbits
	.addrsig
	.addrsig_sym __hip_cuid_a6a2b52d1dfa91d5
	.amdgpu_metadata
---
amdhsa.kernels:
  - .args:
      - .actual_access:  read_only
        .address_space:  global
        .offset:         0
        .size:           8
        .value_kind:     global_buffer
      - .actual_access:  read_only
        .address_space:  global
        .offset:         8
        .size:           8
        .value_kind:     global_buffer
      - .actual_access:  read_only
        .address_space:  global
        .offset:         16
        .size:           8
        .value_kind:     global_buffer
      - .actual_access:  read_only
        .address_space:  global
        .offset:         24
        .size:           8
        .value_kind:     global_buffer
      - .actual_access:  read_only
        .address_space:  global
        .offset:         32
        .size:           8
        .value_kind:     global_buffer
      - .offset:         40
        .size:           8
        .value_kind:     by_value
      - .address_space:  global
        .offset:         48
        .size:           8
        .value_kind:     global_buffer
      - .address_space:  global
        .offset:         56
        .size:           8
        .value_kind:     global_buffer
      - .address_space:  global
        .offset:         64
        .size:           8
        .value_kind:     global_buffer
      - .address_space:  global
        .offset:         72
        .size:           8
        .value_kind:     global_buffer
      - .offset:         80
        .size:           4
        .value_kind:     by_value
      - .address_space:  global
        .offset:         88
        .size:           8
        .value_kind:     global_buffer
      - .address_space:  global
        .offset:         96
        .size:           8
        .value_kind:     global_buffer
    .group_segment_fixed_size: 24752
    .kernarg_segment_align: 8
    .kernarg_segment_size: 104
    .language:       OpenCL C
    .language_version:
      - 2
      - 0
    .max_flat_workgroup_size: 119
    .name:           bluestein_single_fwd_len1547_dim1_dp_op_CI_CI
    .private_segment_fixed_size: 692
    .sgpr_count:     66
    .sgpr_spill_count: 0
    .symbol:         bluestein_single_fwd_len1547_dim1_dp_op_CI_CI.kd
    .uniform_work_group_size: 1
    .uses_dynamic_stack: false
    .vgpr_count:     256
    .vgpr_spill_count: 300
    .wavefront_size: 32
    .workgroup_processor_mode: 1
amdhsa.target:   amdgcn-amd-amdhsa--gfx1030
amdhsa.version:
  - 1
  - 2
...

	.end_amdgpu_metadata
